;; amdgpu-corpus repo=ROCm/rocFFT kind=compiled arch=gfx906 opt=O3
	.text
	.amdgcn_target "amdgcn-amd-amdhsa--gfx906"
	.amdhsa_code_object_version 6
	.protected	bluestein_single_back_len624_dim1_dp_op_CI_CI ; -- Begin function bluestein_single_back_len624_dim1_dp_op_CI_CI
	.globl	bluestein_single_back_len624_dim1_dp_op_CI_CI
	.p2align	8
	.type	bluestein_single_back_len624_dim1_dp_op_CI_CI,@function
bluestein_single_back_len624_dim1_dp_op_CI_CI: ; @bluestein_single_back_len624_dim1_dp_op_CI_CI
; %bb.0:
	s_mov_b64 s[50:51], s[2:3]
	s_mov_b64 s[48:49], s[0:1]
	s_load_dwordx4 s[0:3], s[4:5], 0x28
	v_mul_u32_u24_e32 v1, 0x4ed, v0
	v_add_u32_sdwa v144, s6, v1 dst_sel:DWORD dst_unused:UNUSED_PAD src0_sel:DWORD src1_sel:WORD_1
	v_mov_b32_e32 v145, 0
	s_add_u32 s48, s48, s7
	s_waitcnt lgkmcnt(0)
	v_cmp_gt_u64_e32 vcc, s[0:1], v[144:145]
	s_addc_u32 s49, s49, 0
	s_and_saveexec_b64 s[0:1], vcc
	s_cbranch_execz .LBB0_15
; %bb.1:
	s_load_dwordx2 s[12:13], s[4:5], 0x0
	s_load_dwordx2 s[14:15], s[4:5], 0x38
	v_mov_b32_e32 v2, 52
	v_mul_lo_u16_sdwa v1, v1, v2 dst_sel:DWORD dst_unused:UNUSED_PAD src0_sel:WORD_1 src1_sel:DWORD
	v_sub_u16_e32 v193, v0, v1
	v_cmp_gt_u16_e32 vcc, 48, v193
	v_lshlrev_b32_e32 v194, 4, v193
	s_and_saveexec_b64 s[6:7], vcc
	s_cbranch_execz .LBB0_3
; %bb.2:
	s_load_dwordx2 s[0:1], s[4:5], 0x18
	v_mov_b32_e32 v70, 0x600
	v_or_b32_e32 v71, 0x180, v193
	v_or_b32_e32 v101, 0x240, v193
	s_waitcnt lgkmcnt(0)
	s_load_dwordx4 s[8:11], s[0:1], 0x0
	s_waitcnt lgkmcnt(0)
	v_mad_u64_u32 v[0:1], s[0:1], s10, v144, 0
	v_mad_u64_u32 v[2:3], s[0:1], s8, v193, 0
	s_mul_i32 s10, s9, 0x600
	v_mad_u64_u32 v[4:5], s[0:1], s11, v144, v[1:2]
	v_mad_u64_u32 v[5:6], s[0:1], s9, v193, v[3:4]
	v_mov_b32_e32 v1, v4
	v_lshlrev_b64 v[0:1], 4, v[0:1]
	v_mov_b32_e32 v3, v5
	v_mov_b32_e32 v6, s3
	v_lshlrev_b64 v[2:3], 4, v[2:3]
	v_add_co_u32_e64 v99, s[0:1], s2, v0
	v_addc_co_u32_e64 v100, s[0:1], v6, v1, s[0:1]
	v_add_co_u32_e64 v16, s[0:1], v99, v2
	v_addc_co_u32_e64 v17, s[0:1], v100, v3, s[0:1]
	v_mov_b32_e32 v0, s13
	v_add_co_u32_e64 v93, s[0:1], s12, v194
	v_addc_co_u32_e64 v94, s[0:1], 0, v0, s[0:1]
	s_mul_i32 s0, s9, 0x300
	s_mul_hi_u32 s3, s8, 0x300
	s_add_i32 s3, s3, s0
	s_mul_i32 s2, s8, 0x300
	v_mov_b32_e32 v0, s3
	v_add_co_u32_e64 v18, s[0:1], s2, v16
	v_addc_co_u32_e64 v19, s[0:1], v17, v0, s[0:1]
	global_load_dwordx4 v[0:3], v[16:17], off
	global_load_dwordx4 v[4:7], v[18:19], off
	global_load_dwordx4 v[8:11], v194, s[12:13]
	global_load_dwordx4 v[12:15], v194, s[12:13] offset:768
	v_mov_b32_e32 v16, s3
	v_add_co_u32_e64 v32, s[0:1], s2, v18
	v_or_b32_e32 v17, 0xc0, v193
	v_addc_co_u32_e64 v33, s[0:1], v19, v16, s[0:1]
	v_mad_u64_u32 v[34:35], s[0:1], s8, v17, 0
	v_add_co_u32_e64 v36, s[0:1], s2, v32
	v_addc_co_u32_e64 v37, s[0:1], v33, v16, s[0:1]
	v_mov_b32_e32 v16, v35
	v_mad_u64_u32 v[38:39], s[0:1], s9, v17, v[16:17]
	global_load_dwordx4 v[16:19], v[32:33], off
	global_load_dwordx4 v[20:23], v[36:37], off
	global_load_dwordx4 v[24:27], v194, s[12:13] offset:1536
	global_load_dwordx4 v[28:31], v194, s[12:13] offset:2304
	v_mad_u64_u32 v[48:49], s[0:1], s8, v70, v[36:37]
	v_mov_b32_e32 v35, v38
	v_lshlrev_b64 v[32:33], 4, v[34:35]
	v_add_u32_e32 v49, s10, v49
	v_add_co_u32_e64 v32, s[0:1], v99, v32
	v_addc_co_u32_e64 v33, s[0:1], v100, v33, s[0:1]
	v_mov_b32_e32 v50, s3
	v_add_co_u32_e64 v52, s[0:1], s2, v48
	v_addc_co_u32_e64 v53, s[0:1], v49, v50, s[0:1]
	s_movk_i32 s0, 0x1000
	v_add_co_u32_e64 v88, s[0:1], s0, v93
	v_addc_co_u32_e64 v89, s[0:1], 0, v94, s[0:1]
	v_mad_u64_u32 v[64:65], s[0:1], s8, v71, 0
	global_load_dwordx4 v[32:35], v[32:33], off
	s_nop 0
	global_load_dwordx4 v[36:39], v[48:49], off
	global_load_dwordx4 v[40:43], v194, s[12:13] offset:3072
	global_load_dwordx4 v[44:47], v194, s[12:13] offset:3840
	v_mov_b32_e32 v54, s3
	global_load_dwordx4 v[48:51], v[52:53], off
	v_add_co_u32_e64 v66, s[0:1], s2, v52
	v_mov_b32_e32 v52, v65
	v_addc_co_u32_e64 v67, s[0:1], v53, v54, s[0:1]
	v_mad_u64_u32 v[68:69], s[0:1], s9, v71, v[52:53]
	v_mov_b32_e32 v78, s3
	global_load_dwordx4 v[52:55], v[66:67], off
	global_load_dwordx4 v[56:59], v[88:89], off offset:512
	global_load_dwordx4 v[60:63], v[88:89], off offset:1280
	v_mov_b32_e32 v65, v68
	v_lshlrev_b64 v[64:65], 4, v[64:65]
	v_lshlrev_b32_e32 v68, 4, v71
	v_add_co_u32_e64 v64, s[0:1], v99, v64
	v_addc_co_u32_e64 v65, s[0:1], v100, v65, s[0:1]
	v_mad_u64_u32 v[76:77], s[0:1], s8, v70, v[66:67]
	global_load_dwordx4 v[64:67], v[64:65], off
	v_add_u32_e32 v77, s10, v77
	v_add_co_u32_e64 v90, s[0:1], s2, v76
	v_addc_co_u32_e64 v91, s[0:1], v77, v78, s[0:1]
	v_mad_u64_u32 v[96:97], s[0:1], s8, v101, 0
	global_load_dwordx4 v[68:71], v68, s[12:13]
	v_mov_b32_e32 v92, v97
	global_load_dwordx4 v[72:75], v[76:77], off
	s_nop 0
	global_load_dwordx4 v[76:79], v[90:91], off
	global_load_dwordx4 v[80:83], v[88:89], off offset:2816
	global_load_dwordx4 v[84:87], v[88:89], off offset:3584
	v_mov_b32_e32 v89, s3
	v_add_co_u32_e64 v88, s[0:1], s2, v90
	v_addc_co_u32_e64 v89, s[0:1], v91, v89, s[0:1]
	v_mad_u64_u32 v[97:98], s[0:1], s9, v101, v[92:93]
	s_movk_i32 s2, 0x2000
	v_add_co_u32_e64 v92, s[0:1], s2, v93
	v_lshlrev_b64 v[96:97], 4, v[96:97]
	v_addc_co_u32_e64 v93, s[0:1], 0, v94, s[0:1]
	v_add_co_u32_e64 v96, s[0:1], v99, v96
	global_load_dwordx4 v[88:91], v[88:89], off
	v_addc_co_u32_e64 v97, s[0:1], v100, v97, s[0:1]
	global_load_dwordx4 v[92:95], v[92:93], off offset:256
	v_lshlrev_b32_e32 v100, 4, v101
	global_load_dwordx4 v[96:99], v[96:97], off
	s_waitcnt vmcnt(22)
	v_mul_f64 v[104:105], v[2:3], v[10:11]
	global_load_dwordx4 v[100:103], v100, s[12:13]
	v_mul_f64 v[10:11], v[0:1], v[10:11]
	v_fma_f64 v[0:1], v[0:1], v[8:9], v[104:105]
	s_waitcnt vmcnt(18)
	v_mul_f64 v[104:105], v[22:23], v[30:31]
	v_fma_f64 v[2:3], v[2:3], v[8:9], -v[10:11]
	v_mul_f64 v[8:9], v[6:7], v[14:15]
	v_mul_f64 v[10:11], v[4:5], v[14:15]
	;; [unrolled: 1-line block ×5, first 2 shown]
	v_fma_f64 v[4:5], v[4:5], v[12:13], v[8:9]
	v_fma_f64 v[6:7], v[6:7], v[12:13], -v[10:11]
	v_fma_f64 v[8:9], v[16:17], v[24:25], v[14:15]
	v_fma_f64 v[10:11], v[18:19], v[24:25], -v[26:27]
	s_waitcnt vmcnt(15)
	v_mul_f64 v[106:107], v[34:35], v[42:43]
	v_mul_f64 v[42:43], v[32:33], v[42:43]
	v_fma_f64 v[12:13], v[20:21], v[28:29], v[104:105]
	v_fma_f64 v[14:15], v[22:23], v[28:29], -v[30:31]
	v_fma_f64 v[16:17], v[32:33], v[40:41], v[106:107]
	v_fma_f64 v[18:19], v[34:35], v[40:41], -v[42:43]
	ds_write_b128 v194, v[0:3]
	ds_write_b128 v194, v[4:7] offset:768
	ds_write_b128 v194, v[8:11] offset:1536
	;; [unrolled: 1-line block ×4, first 2 shown]
	s_waitcnt vmcnt(14)
	v_mul_f64 v[0:1], v[38:39], v[46:47]
	v_mul_f64 v[2:3], v[36:37], v[46:47]
	s_waitcnt vmcnt(11)
	v_mul_f64 v[4:5], v[50:51], v[58:59]
	v_mul_f64 v[6:7], v[48:49], v[58:59]
	s_waitcnt vmcnt(10)
	v_mul_f64 v[8:9], v[54:55], v[62:63]
	v_mul_f64 v[10:11], v[52:53], v[62:63]
	v_fma_f64 v[0:1], v[36:37], v[44:45], v[0:1]
	v_fma_f64 v[2:3], v[38:39], v[44:45], -v[2:3]
	v_fma_f64 v[4:5], v[48:49], v[56:57], v[4:5]
	v_fma_f64 v[6:7], v[50:51], v[56:57], -v[6:7]
	;; [unrolled: 2-line block ×3, first 2 shown]
	s_waitcnt vmcnt(8)
	v_mul_f64 v[12:13], v[66:67], v[70:71]
	v_mul_f64 v[14:15], v[64:65], v[70:71]
	s_waitcnt vmcnt(5)
	v_mul_f64 v[16:17], v[74:75], v[82:83]
	v_mul_f64 v[18:19], v[72:73], v[82:83]
	;; [unrolled: 3-line block ×3, first 2 shown]
	v_fma_f64 v[12:13], v[64:65], v[68:69], v[12:13]
	v_fma_f64 v[14:15], v[66:67], v[68:69], -v[14:15]
	v_fma_f64 v[16:17], v[72:73], v[80:81], v[16:17]
	v_fma_f64 v[18:19], v[74:75], v[80:81], -v[18:19]
	;; [unrolled: 2-line block ×3, first 2 shown]
	s_waitcnt vmcnt(2)
	v_mul_f64 v[24:25], v[90:91], v[94:95]
	v_mul_f64 v[26:27], v[88:89], v[94:95]
	s_waitcnt vmcnt(0)
	v_mul_f64 v[28:29], v[98:99], v[102:103]
	v_mul_f64 v[30:31], v[96:97], v[102:103]
	v_fma_f64 v[24:25], v[88:89], v[92:93], v[24:25]
	v_fma_f64 v[26:27], v[90:91], v[92:93], -v[26:27]
	v_fma_f64 v[28:29], v[96:97], v[100:101], v[28:29]
	v_fma_f64 v[30:31], v[98:99], v[100:101], -v[30:31]
	ds_write_b128 v194, v[0:3] offset:3840
	ds_write_b128 v194, v[4:7] offset:4608
	;; [unrolled: 1-line block ×8, first 2 shown]
.LBB0_3:
	s_or_b64 exec, exec, s[6:7]
	s_load_dwordx2 s[2:3], s[4:5], 0x20
	s_load_dwordx2 s[0:1], s[4:5], 0x8
	s_waitcnt lgkmcnt(0)
	; wave barrier
	s_waitcnt lgkmcnt(0)
                                        ; implicit-def: $vgpr4_vgpr5
                                        ; implicit-def: $vgpr8_vgpr9
                                        ; implicit-def: $vgpr12_vgpr13
                                        ; implicit-def: $vgpr20_vgpr21
                                        ; implicit-def: $vgpr28_vgpr29
                                        ; implicit-def: $vgpr44_vgpr45
                                        ; implicit-def: $vgpr52_vgpr53
                                        ; implicit-def: $vgpr48_vgpr49
                                        ; implicit-def: $vgpr40_vgpr41
                                        ; implicit-def: $vgpr36_vgpr37
                                        ; implicit-def: $vgpr32_vgpr33
                                        ; implicit-def: $vgpr24_vgpr25
                                        ; implicit-def: $vgpr16_vgpr17
	s_and_saveexec_b64 s[4:5], vcc
	s_cbranch_execz .LBB0_5
; %bb.4:
	ds_read_b128 v[4:7], v194
	ds_read_b128 v[16:19], v194 offset:768
	ds_read_b128 v[24:27], v194 offset:1536
	;; [unrolled: 1-line block ×12, first 2 shown]
.LBB0_5:
	s_or_b64 exec, exec, s[4:5]
	s_waitcnt lgkmcnt(0)
	v_add_f64 v[106:107], v[18:19], -v[54:55]
	v_add_f64 v[100:101], v[16:17], -v[52:53]
	s_mov_b32 s24, 0x4267c47c
	s_mov_b32 s25, 0xbfddbe06
	v_add_f64 v[64:65], v[52:53], v[16:17]
	v_add_f64 v[120:121], v[54:55], v[18:19]
	v_add_f64 v[84:85], v[26:27], -v[46:47]
	v_add_f64 v[82:83], v[24:25], -v[44:45]
	v_mul_f64 v[66:67], v[106:107], s[24:25]
	v_mul_f64 v[68:69], v[100:101], s[24:25]
	s_mov_b32 s4, 0xe00740e9
	s_mov_b32 s20, 0x42a4c3d2
	;; [unrolled: 1-line block ×4, first 2 shown]
	v_add_f64 v[70:71], v[44:45], v[24:25]
	v_add_f64 v[122:123], v[46:47], v[26:27]
	v_fma_f64 v[0:1], v[64:65], s[4:5], v[66:67]
	v_fma_f64 v[2:3], v[120:121], s[4:5], -v[68:69]
	v_mul_f64 v[72:73], v[84:85], s[20:21]
	v_mul_f64 v[74:75], v[82:83], s[20:21]
	v_add_f64 v[94:95], v[10:11], -v[50:51]
	v_add_f64 v[90:91], v[8:9], -v[48:49]
	s_mov_b32 s6, 0x1ea71119
	s_mov_b32 s28, 0x66966769
	;; [unrolled: 1-line block ×4, first 2 shown]
	v_add_f64 v[0:1], v[4:5], v[0:1]
	v_add_f64 v[2:3], v[6:7], v[2:3]
	v_fma_f64 v[56:57], v[70:71], s[6:7], v[72:73]
	v_fma_f64 v[58:59], v[122:123], s[6:7], -v[74:75]
	v_add_f64 v[76:77], v[8:9], v[48:49]
	v_add_f64 v[128:129], v[10:11], v[50:51]
	v_mul_f64 v[78:79], v[94:95], s[28:29]
	v_mul_f64 v[80:81], v[90:91], s[28:29]
	v_add_f64 v[98:99], v[14:15], -v[42:43]
	v_add_f64 v[96:97], v[12:13], -v[40:41]
	s_mov_b32 s8, 0xebaa3ed8
	s_mov_b32 s18, 0x2ef20147
	;; [unrolled: 1-line block ×4, first 2 shown]
	v_add_f64 v[0:1], v[56:57], v[0:1]
	v_add_f64 v[2:3], v[58:59], v[2:3]
	v_fma_f64 v[56:57], v[76:77], s[8:9], v[78:79]
	v_add_f64 v[86:87], v[12:13], v[40:41]
	v_mul_f64 v[88:89], v[98:99], s[18:19]
	v_fma_f64 v[58:59], v[128:129], s[8:9], -v[80:81]
	v_add_f64 v[153:154], v[14:15], v[42:43]
	v_mul_f64 v[92:93], v[96:97], s[18:19]
	v_add_f64 v[110:111], v[34:35], -v[30:31]
	v_add_f64 v[116:117], v[32:33], -v[28:29]
	s_mov_b32 s16, 0xb2365da1
	s_mov_b32 s34, 0x24c2f84
	;; [unrolled: 1-line block ×4, first 2 shown]
	v_add_f64 v[0:1], v[56:57], v[0:1]
	v_fma_f64 v[56:57], v[86:87], s[16:17], v[88:89]
	v_add_f64 v[104:105], v[28:29], v[32:33]
	v_mul_f64 v[102:103], v[110:111], s[34:35]
	v_add_f64 v[2:3], v[58:59], v[2:3]
	v_fma_f64 v[58:59], v[153:154], s[16:17], -v[92:93]
	v_add_f64 v[155:156], v[30:31], v[34:35]
	v_mul_f64 v[108:109], v[116:117], s[34:35]
	v_add_f64 v[124:125], v[38:39], -v[22:23]
	v_add_f64 v[126:127], v[36:37], -v[20:21]
	s_mov_b32 s22, 0xd0032e0c
	s_mov_b32 s30, 0x4bc48dbf
	;; [unrolled: 1-line block ×4, first 2 shown]
	v_add_f64 v[0:1], v[56:57], v[0:1]
	v_fma_f64 v[56:57], v[104:105], s[22:23], v[102:103]
	v_add_f64 v[2:3], v[58:59], v[2:3]
	v_fma_f64 v[58:59], v[155:156], s[22:23], -v[108:109]
	v_add_f64 v[112:113], v[20:21], v[36:37]
	v_mul_f64 v[114:115], v[124:125], s[30:31]
	v_add_f64 v[159:160], v[22:23], v[38:39]
	v_mul_f64 v[118:119], v[126:127], s[30:31]
	s_mov_b32 s26, 0x93053d00
	s_mov_b32 s27, 0xbfef11f4
	v_add_f64 v[0:1], v[56:57], v[0:1]
	v_add_f64 v[2:3], v[58:59], v[2:3]
	v_fma_f64 v[56:57], v[112:113], s[26:27], v[114:115]
	; wave barrier
	v_fma_f64 v[58:59], v[159:160], s[26:27], -v[118:119]
	v_add_f64 v[216:217], v[56:57], v[0:1]
	v_mul_lo_u16_e32 v0, 13, v193
	v_add_f64 v[218:219], v[58:59], v[2:3]
	s_and_saveexec_b64 s[10:11], vcc
	s_cbranch_execz .LBB0_7
; %bb.6:
	v_mul_f64 v[56:57], v[120:121], s[26:27]
	s_mov_b32 s39, 0x3fcea1e5
	s_mov_b32 s38, s30
	v_mul_f64 v[58:59], v[122:123], s[4:5]
	v_mul_f64 v[62:63], v[128:129], s[22:23]
	s_mov_b32 s37, 0x3fe5384d
	s_mov_b32 s36, s34
	v_mul_f64 v[163:164], v[153:154], s[6:7]
	v_fma_f64 v[60:61], v[100:101], s[38:39], v[56:57]
	v_mul_f64 v[167:168], v[106:107], s[30:31]
	s_mov_b32 s41, 0x3fddbe06
	v_fma_f64 v[157:158], v[82:83], s[24:25], v[58:59]
	v_fma_f64 v[165:166], v[90:91], s[36:37], v[62:63]
	s_mov_b32 s40, s24
	v_fma_f64 v[56:57], v[100:101], s[30:31], v[56:57]
	v_fma_f64 v[169:170], v[96:97], s[20:21], v[163:164]
	v_add_f64 v[60:61], v[6:7], v[60:61]
	v_fma_f64 v[171:172], v[64:65], s[26:27], v[167:168]
	v_mul_f64 v[173:174], v[94:95], s[34:35]
	v_fma_f64 v[167:168], v[64:65], s[26:27], -v[167:168]
	v_fma_f64 v[58:59], v[82:83], s[40:41], v[58:59]
	s_mov_b32 s47, 0x3fea55e2
	v_add_f64 v[56:57], v[6:7], v[56:57]
	s_mov_b32 s46, s20
	v_add_f64 v[60:61], v[157:158], v[60:61]
	v_add_f64 v[171:172], v[4:5], v[171:172]
	v_mul_f64 v[177:178], v[98:99], s[46:47]
	v_add_f64 v[167:168], v[4:5], v[167:168]
	v_fma_f64 v[179:180], v[76:77], s[22:23], v[173:174]
	v_fma_f64 v[62:63], v[90:91], s[34:35], v[62:63]
	v_add_f64 v[56:57], v[58:59], v[56:57]
	v_mul_f64 v[157:158], v[155:156], s[16:17]
	v_add_f64 v[60:61], v[165:166], v[60:61]
	v_mul_f64 v[165:166], v[84:85], s[40:41]
	v_mul_f64 v[58:59], v[110:111], s[18:19]
	v_fma_f64 v[163:164], v[96:97], s[46:47], v[163:164]
	s_mov_b32 s45, 0x3fedeba7
	s_mov_b32 s44, s18
	v_add_f64 v[56:57], v[62:63], v[56:57]
	v_mul_f64 v[161:162], v[159:160], s[8:9]
	v_add_f64 v[60:61], v[169:170], v[60:61]
	v_fma_f64 v[169:170], v[70:71], s[4:5], v[165:166]
	v_fma_f64 v[165:166], v[70:71], s[4:5], -v[165:166]
	v_fma_f64 v[175:176], v[116:117], s[44:45], v[157:158]
	v_fma_f64 v[157:158], v[116:117], s[18:19], v[157:158]
	s_mov_b32 s43, 0x3fefc445
	v_add_f64 v[56:57], v[163:164], v[56:57]
	s_mov_b32 s42, s28
	v_mul_f64 v[62:63], v[124:125], s[42:43]
	v_add_f64 v[169:170], v[169:170], v[171:172]
	v_fma_f64 v[171:172], v[76:77], s[22:23], -v[173:174]
	v_add_f64 v[165:166], v[165:166], v[167:168]
	v_fma_f64 v[167:168], v[86:87], s[6:7], v[177:178]
	v_fma_f64 v[173:174], v[86:87], s[6:7], -v[177:178]
	v_fma_f64 v[163:164], v[126:127], s[28:29], v[161:162]
	v_fma_f64 v[161:162], v[126:127], s[42:43], v[161:162]
	v_add_f64 v[60:61], v[175:176], v[60:61]
	v_add_f64 v[169:170], v[179:180], v[169:170]
	v_fma_f64 v[175:176], v[112:113], s[8:9], -v[62:63]
	v_add_f64 v[165:166], v[171:172], v[165:166]
	v_fma_f64 v[171:172], v[104:105], s[16:17], v[58:59]
	v_fma_f64 v[58:59], v[104:105], s[16:17], -v[58:59]
	v_mul_f64 v[177:178], v[84:85], s[42:43]
	v_mul_f64 v[187:188], v[94:95], s[20:21]
	;; [unrolled: 1-line block ×3, first 2 shown]
	v_add_f64 v[167:168], v[167:168], v[169:170]
	v_fma_f64 v[169:170], v[112:113], s[8:9], v[62:63]
	v_add_f64 v[165:166], v[173:174], v[165:166]
	v_mul_f64 v[173:174], v[120:121], s[22:23]
	v_mul_f64 v[191:192], v[98:99], s[38:39]
	v_fma_f64 v[189:190], v[70:71], s[8:9], v[177:178]
	v_fma_f64 v[197:198], v[76:77], s[6:7], v[187:188]
	v_fma_f64 v[177:178], v[70:71], s[8:9], -v[177:178]
	v_add_f64 v[167:168], v[171:172], v[167:168]
	v_add_f64 v[171:172], v[157:158], v[56:57]
	;; [unrolled: 1-line block ×4, first 2 shown]
	v_mul_f64 v[163:164], v[122:123], s[8:9]
	v_mul_f64 v[203:204], v[98:99], s[28:29]
	v_add_f64 v[18:19], v[6:7], v[18:19]
	v_add_f64 v[16:17], v[4:5], v[16:17]
	;; [unrolled: 1-line block ×4, first 2 shown]
	v_mul_f64 v[161:162], v[106:107], s[34:35]
	v_fma_f64 v[167:168], v[100:101], s[36:37], v[173:174]
	v_add_f64 v[60:61], v[175:176], v[165:166]
	v_mul_f64 v[171:172], v[128:129], s[6:7]
	v_fma_f64 v[175:176], v[82:83], s[28:29], v[163:164]
	v_fma_f64 v[173:174], v[100:101], s[34:35], v[173:174]
	;; [unrolled: 1-line block ×3, first 2 shown]
	v_mul_f64 v[169:170], v[155:156], s[4:5]
	v_fma_f64 v[179:180], v[64:65], s[22:23], v[161:162]
	v_add_f64 v[167:168], v[6:7], v[167:168]
	v_fma_f64 v[161:162], v[64:65], s[22:23], -v[161:162]
	v_fma_f64 v[185:186], v[90:91], s[46:47], v[171:172]
	v_fma_f64 v[171:172], v[90:91], s[20:21], v[171:172]
	v_add_f64 v[173:174], v[6:7], v[173:174]
	v_mul_f64 v[165:166], v[159:160], s[16:17]
	v_fma_f64 v[181:182], v[116:117], s[24:25], v[169:170]
	v_add_f64 v[179:180], v[4:5], v[179:180]
	v_add_f64 v[167:168], v[175:176], v[167:168]
	v_fma_f64 v[175:176], v[96:97], s[30:31], v[183:184]
	v_add_f64 v[161:162], v[4:5], v[161:162]
	v_fma_f64 v[169:170], v[116:117], s[40:41], v[169:170]
	v_add_f64 v[163:164], v[163:164], v[173:174]
	v_mul_f64 v[173:174], v[110:111], s[40:41]
	v_add_f64 v[18:19], v[26:27], v[18:19]
	v_add_f64 v[179:180], v[189:190], v[179:180]
	;; [unrolled: 1-line block ×3, first 2 shown]
	v_fma_f64 v[185:186], v[86:87], s[26:27], v[191:192]
	v_add_f64 v[161:162], v[177:178], v[161:162]
	v_mul_f64 v[189:190], v[153:154], s[8:9]
	v_add_f64 v[163:164], v[171:172], v[163:164]
	v_mul_f64 v[171:172], v[124:125], s[18:19]
	v_fma_f64 v[177:178], v[104:105], s[4:5], v[173:174]
	v_add_f64 v[179:180], v[197:198], v[179:180]
	v_add_f64 v[167:168], v[175:176], v[167:168]
	v_fma_f64 v[175:176], v[96:97], s[38:39], v[183:184]
	v_fma_f64 v[183:184], v[76:77], s[6:7], -v[187:188]
	v_fma_f64 v[173:174], v[104:105], s[4:5], -v[173:174]
	v_mul_f64 v[197:198], v[94:95], s[40:41]
	v_fma_f64 v[201:202], v[96:97], s[42:43], v[189:190]
	v_mul_f64 v[187:188], v[159:160], s[6:7]
	v_add_f64 v[179:180], v[185:186], v[179:180]
	v_add_f64 v[167:168], v[181:182], v[167:168]
	;; [unrolled: 1-line block ×3, first 2 shown]
	v_fma_f64 v[175:176], v[86:87], s[26:27], -v[191:192]
	v_add_f64 v[161:162], v[183:184], v[161:162]
	v_fma_f64 v[181:182], v[112:113], s[16:17], v[171:172]
	v_fma_f64 v[185:186], v[126:127], s[44:45], v[165:166]
	;; [unrolled: 1-line block ×3, first 2 shown]
	v_add_f64 v[177:178], v[177:178], v[179:180]
	v_mul_f64 v[179:180], v[120:121], s[16:17]
	v_add_f64 v[169:170], v[169:170], v[163:164]
	v_mul_f64 v[183:184], v[122:123], s[22:23]
	v_add_f64 v[175:176], v[175:176], v[161:162]
	v_fma_f64 v[205:206], v[76:77], s[4:5], v[197:198]
	v_add_f64 v[163:164], v[185:186], v[167:168]
	v_fma_f64 v[189:190], v[96:97], s[28:29], v[189:190]
	v_add_f64 v[161:162], v[181:182], v[177:178]
	v_mul_f64 v[177:178], v[106:107], s[18:19]
	v_fma_f64 v[181:182], v[100:101], s[44:45], v[179:180]
	v_add_f64 v[167:168], v[165:166], v[169:170]
	v_fma_f64 v[165:166], v[112:113], s[16:17], -v[171:172]
	v_add_f64 v[171:172], v[173:174], v[175:176]
	v_mul_f64 v[175:176], v[84:85], s[36:37]
	v_mul_f64 v[169:170], v[128:129], s[4:5]
	v_fma_f64 v[173:174], v[82:83], s[34:35], v[183:184]
	v_fma_f64 v[185:186], v[64:65], s[16:17], v[177:178]
	v_add_f64 v[181:182], v[6:7], v[181:182]
	v_fma_f64 v[179:180], v[100:101], s[18:19], v[179:180]
	v_fma_f64 v[183:184], v[82:83], s[36:37], v[183:184]
	v_fma_f64 v[177:178], v[64:65], s[16:17], -v[177:178]
	v_fma_f64 v[199:200], v[70:71], s[22:23], v[175:176]
	v_fma_f64 v[191:192], v[90:91], s[24:25], v[169:170]
	;; [unrolled: 1-line block ×3, first 2 shown]
	v_add_f64 v[185:186], v[4:5], v[185:186]
	v_add_f64 v[173:174], v[173:174], v[181:182]
	;; [unrolled: 1-line block ×3, first 2 shown]
	v_mul_f64 v[181:182], v[155:156], s[26:27]
	v_fma_f64 v[175:176], v[70:71], s[22:23], -v[175:176]
	v_add_f64 v[177:178], v[4:5], v[177:178]
	v_fma_f64 v[197:198], v[76:77], s[4:5], -v[197:198]
	v_add_f64 v[165:166], v[165:166], v[171:172]
	v_add_f64 v[185:186], v[199:200], v[185:186]
	;; [unrolled: 1-line block ×4, first 2 shown]
	v_mul_f64 v[183:184], v[110:111], s[38:39]
	v_fma_f64 v[199:200], v[86:87], s[8:9], v[203:204]
	v_fma_f64 v[191:192], v[116:117], s[30:31], v[181:182]
	v_fma_f64 v[181:182], v[116:117], s[38:39], v[181:182]
	v_add_f64 v[175:176], v[175:176], v[177:178]
	v_add_f64 v[185:186], v[205:206], v[185:186]
	;; [unrolled: 1-line block ×4, first 2 shown]
	v_mul_f64 v[179:180], v[124:125], s[46:47]
	v_fma_f64 v[201:202], v[104:105], s[26:27], v[183:184]
	v_add_f64 v[16:17], v[24:25], v[16:17]
	v_add_f64 v[10:11], v[10:11], v[18:19]
	;; [unrolled: 1-line block ×4, first 2 shown]
	v_fma_f64 v[199:200], v[126:127], s[20:21], v[187:188]
	v_add_f64 v[169:170], v[189:190], v[169:170]
	v_add_f64 v[173:174], v[191:192], v[173:174]
	v_fma_f64 v[177:178], v[112:113], s[6:7], v[179:180]
	v_mul_f64 v[191:192], v[120:121], s[8:9]
	v_fma_f64 v[187:188], v[126:127], s[46:47], v[187:188]
	v_fma_f64 v[189:190], v[86:87], s[8:9], -v[203:204]
	v_add_f64 v[185:186], v[201:202], v[185:186]
	v_mul_f64 v[197:198], v[106:107], s[28:29]
	v_add_f64 v[181:182], v[181:182], v[169:170]
	v_add_f64 v[171:172], v[199:200], v[173:174]
	v_mul_f64 v[173:174], v[122:123], s[26:27]
	v_add_f64 v[8:9], v[8:9], v[16:17]
	v_mul_f64 v[203:204], v[84:85], s[30:31]
	v_add_f64 v[10:11], v[14:15], v[10:11]
	v_add_f64 v[169:170], v[177:178], v[185:186]
	v_fma_f64 v[177:178], v[104:105], s[26:27], -v[183:184]
	v_fma_f64 v[183:184], v[100:101], s[42:43], v[191:192]
	v_add_f64 v[185:186], v[189:190], v[175:176]
	v_add_f64 v[175:176], v[187:188], v[181:182]
	v_mul_f64 v[187:188], v[128:129], s[16:17]
	v_fma_f64 v[189:190], v[82:83], s[38:39], v[173:174]
	v_fma_f64 v[191:192], v[100:101], s[28:29], v[191:192]
	;; [unrolled: 1-line block ×3, first 2 shown]
	v_mul_f64 v[181:182], v[159:160], s[22:23]
	v_add_f64 v[183:184], v[6:7], v[183:184]
	v_add_f64 v[177:178], v[177:178], v[185:186]
	v_mul_f64 v[185:186], v[153:154], s[4:5]
	v_fma_f64 v[201:202], v[90:91], s[18:19], v[187:188]
	v_fma_f64 v[187:188], v[90:91], s[44:45], v[187:188]
	v_add_f64 v[191:192], v[6:7], v[191:192]
	v_fma_f64 v[205:206], v[64:65], s[8:9], v[197:198]
	v_fma_f64 v[197:198], v[64:65], s[8:9], -v[197:198]
	v_add_f64 v[183:184], v[189:190], v[183:184]
	v_mul_f64 v[189:190], v[155:156], s[6:7]
	v_fma_f64 v[207:208], v[96:97], s[24:25], v[185:186]
	v_fma_f64 v[185:186], v[96:97], s[40:41], v[185:186]
	v_add_f64 v[8:9], v[12:13], v[8:9]
	v_add_f64 v[173:174], v[173:174], v[191:192]
	v_fma_f64 v[179:180], v[112:113], s[6:7], -v[179:180]
	v_fma_f64 v[199:200], v[126:127], s[36:37], v[181:182]
	v_add_f64 v[183:184], v[201:202], v[183:184]
	v_fma_f64 v[201:202], v[116:117], s[46:47], v[189:190]
	v_fma_f64 v[189:190], v[116:117], s[20:21], v[189:190]
	;; [unrolled: 1-line block ×3, first 2 shown]
	v_fma_f64 v[203:204], v[70:71], s[26:27], -v[203:204]
	v_add_f64 v[173:174], v[187:188], v[173:174]
	v_add_f64 v[197:198], v[4:5], v[197:198]
	;; [unrolled: 1-line block ×5, first 2 shown]
	v_mul_f64 v[147:148], v[64:65], s[4:5]
	v_mul_f64 v[151:152], v[120:121], s[4:5]
	v_fma_f64 v[181:182], v[126:127], s[34:35], v[181:182]
	v_add_f64 v[185:186], v[185:186], v[173:174]
	v_add_f64 v[173:174], v[179:180], v[177:178]
	;; [unrolled: 1-line block ×4, first 2 shown]
	v_mul_f64 v[203:204], v[124:125], s[34:35]
	v_mul_f64 v[106:107], v[106:107], s[20:21]
	;; [unrolled: 1-line block ×3, first 2 shown]
	v_add_f64 v[205:206], v[4:5], v[205:206]
	v_add_f64 v[10:11], v[38:39], v[10:11]
	;; [unrolled: 1-line block ×3, first 2 shown]
	v_mul_f64 v[142:143], v[70:71], s[6:7]
	v_add_f64 v[179:180], v[199:200], v[183:184]
	v_add_f64 v[183:184], v[189:190], v[185:186]
	v_mul_f64 v[189:190], v[120:121], s[6:7]
	v_mul_f64 v[149:150], v[122:123], s[6:7]
	v_add_f64 v[68:69], v[68:69], v[151:152]
	v_add_f64 v[36:37], v[147:148], -v[66:67]
	v_fma_f64 v[185:186], v[112:113], s[22:23], v[203:204]
	v_mul_f64 v[122:123], v[122:123], s[16:17]
	v_mul_f64 v[84:85], v[84:85], s[18:19]
	v_add_f64 v[120:121], v[181:182], v[183:184]
	v_fma_f64 v[183:184], v[100:101], s[46:47], v[189:190]
	v_fma_f64 v[100:101], v[100:101], s[20:21], v[189:190]
	v_fma_f64 v[181:182], v[112:113], s[22:23], -v[203:204]
	v_fma_f64 v[203:204], v[64:65], s[6:7], v[106:107]
	v_fma_f64 v[38:39], v[64:65], s[6:7], -v[106:107]
	v_mul_f64 v[213:214], v[98:99], s[40:41]
	v_fma_f64 v[191:192], v[76:77], s[16:17], v[209:210]
	v_add_f64 v[205:206], v[211:212], v[205:206]
	v_add_f64 v[10:11], v[22:23], v[10:11]
	;; [unrolled: 1-line block ×3, first 2 shown]
	v_mul_f64 v[140:141], v[76:77], s[8:9]
	v_mul_f64 v[145:146], v[128:129], s[8:9]
	v_add_f64 v[183:184], v[6:7], v[183:184]
	v_add_f64 v[100:101], v[6:7], v[100:101]
	v_mul_f64 v[24:25], v[94:95], s[30:31]
	v_add_f64 v[66:67], v[74:75], v[149:150]
	v_add_f64 v[6:7], v[6:7], v[68:69]
	v_add_f64 v[68:69], v[142:143], -v[72:73]
	v_add_f64 v[20:21], v[4:5], v[36:37]
	v_mul_f64 v[128:129], v[128:129], s[26:27]
	v_fma_f64 v[199:200], v[82:83], s[44:45], v[122:123]
	v_fma_f64 v[82:83], v[82:83], s[18:19], v[122:123]
	v_add_f64 v[94:95], v[4:5], v[203:204]
	v_fma_f64 v[64:65], v[70:71], s[16:17], -v[84:85]
	v_add_f64 v[4:5], v[4:5], v[38:39]
	v_fma_f64 v[187:188], v[86:87], s[4:5], v[213:214]
	v_add_f64 v[191:192], v[191:192], v[205:206]
	v_fma_f64 v[201:202], v[76:77], s[16:17], -v[209:210]
	v_fma_f64 v[26:27], v[70:71], s[16:17], v[84:85]
	v_add_f64 v[10:11], v[30:31], v[10:11]
	v_add_f64 v[8:9], v[28:29], v[8:9]
	v_mul_f64 v[134:135], v[86:87], s[16:17]
	v_mul_f64 v[138:139], v[153:154], s[16:17]
	v_fma_f64 v[18:19], v[76:77], s[26:27], v[24:25]
	v_fma_f64 v[22:23], v[76:77], s[26:27], -v[24:25]
	v_add_f64 v[24:25], v[80:81], v[145:146]
	v_add_f64 v[6:7], v[66:67], v[6:7]
	v_add_f64 v[36:37], v[140:141], -v[78:79]
	v_add_f64 v[20:21], v[68:69], v[20:21]
	v_mul_f64 v[153:154], v[153:154], s[22:23]
	v_fma_f64 v[189:190], v[90:91], s[38:39], v[128:129]
	v_fma_f64 v[90:91], v[90:91], s[30:31], v[128:129]
	v_add_f64 v[82:83], v[82:83], v[100:101]
	v_mul_f64 v[16:17], v[98:99], s[36:37]
	v_add_f64 v[4:5], v[64:65], v[4:5]
	v_mul_f64 v[207:208], v[110:111], s[20:21]
	v_add_f64 v[187:188], v[187:188], v[191:192]
	v_fma_f64 v[177:178], v[86:87], s[4:5], -v[213:214]
	v_add_f64 v[191:192], v[201:202], v[197:198]
	v_add_f64 v[183:184], v[199:200], v[183:184]
	;; [unrolled: 1-line block ×5, first 2 shown]
	v_mul_f64 v[132:133], v[104:105], s[22:23]
	v_mul_f64 v[136:137], v[155:156], s[22:23]
	v_add_f64 v[28:29], v[92:93], v[138:139]
	v_add_f64 v[6:7], v[24:25], v[6:7]
	v_add_f64 v[24:25], v[134:135], -v[88:89]
	v_add_f64 v[20:21], v[36:37], v[20:21]
	v_mul_f64 v[155:156], v[155:156], s[8:9]
	v_fma_f64 v[201:202], v[96:97], s[34:35], v[153:154]
	v_fma_f64 v[96:97], v[96:97], s[36:37], v[153:154]
	v_add_f64 v[82:83], v[90:91], v[82:83]
	v_mul_f64 v[12:13], v[110:111], s[42:43]
	v_fma_f64 v[14:15], v[86:87], s[22:23], v[16:17]
	v_fma_f64 v[16:17], v[86:87], s[22:23], -v[16:17]
	v_add_f64 v[4:5], v[22:23], v[4:5]
	v_fma_f64 v[197:198], v[104:105], s[6:7], -v[207:208]
	v_add_f64 v[177:178], v[177:178], v[191:192]
	v_add_f64 v[122:123], v[189:190], v[183:184]
	;; [unrolled: 1-line block ×5, first 2 shown]
	v_mul_f64 v[130:131], v[112:113], s[26:27]
	v_mul_f64 v[157:158], v[159:160], s[26:27]
	v_add_f64 v[22:23], v[108:109], v[136:137]
	v_add_f64 v[6:7], v[28:29], v[6:7]
	v_add_f64 v[28:29], v[132:133], -v[102:103]
	v_add_f64 v[20:21], v[24:25], v[20:21]
	v_mul_f64 v[159:160], v[159:160], s[4:5]
	v_fma_f64 v[90:91], v[116:117], s[42:43], v[155:156]
	v_add_f64 v[82:83], v[96:97], v[82:83]
	v_mul_f64 v[32:33], v[124:125], s[40:41]
	v_fma_f64 v[34:35], v[104:105], s[8:9], v[12:13]
	v_fma_f64 v[12:13], v[104:105], s[8:9], -v[12:13]
	v_add_f64 v[4:5], v[16:17], v[4:5]
	v_fma_f64 v[205:206], v[104:105], s[6:7], v[207:208]
	v_add_f64 v[177:178], v[197:198], v[177:178]
	v_fma_f64 v[197:198], v[116:117], s[28:29], v[155:156]
	v_add_f64 v[94:95], v[201:202], v[122:123]
	v_add_f64 v[14:15], v[14:15], v[18:19]
	;; [unrolled: 1-line block ×6, first 2 shown]
	v_add_f64 v[30:31], v[130:131], -v[114:115]
	v_add_f64 v[20:21], v[28:29], v[20:21]
	v_fma_f64 v[18:19], v[126:127], s[40:41], v[159:160]
	v_add_f64 v[82:83], v[90:91], v[82:83]
	v_fma_f64 v[16:17], v[112:113], s[4:5], -v[32:33]
	v_add_f64 v[4:5], v[12:13], v[4:5]
	v_add_f64 v[187:188], v[205:206], v[187:188]
	v_fma_f64 v[191:192], v[126:127], s[24:25], v[159:160]
	v_add_f64 v[26:27], v[197:198], v[94:95]
	v_fma_f64 v[28:29], v[112:113], s[4:5], v[32:33]
	v_add_f64 v[32:33], v[34:35], v[14:15]
	v_add_f64 v[14:15], v[54:55], v[36:37]
	;; [unrolled: 1-line block ×8, first 2 shown]
	v_lshlrev_b32_e32 v0, 4, v0
	v_add_f64 v[177:178], v[185:186], v[187:188]
	v_add_f64 v[18:19], v[191:192], v[26:27]
	;; [unrolled: 1-line block ×3, first 2 shown]
	ds_write_b128 v0, v[12:15]
	ds_write_b128 v0, v[8:11] offset:16
	ds_write_b128 v0, v[4:7] offset:32
	;; [unrolled: 1-line block ×12, first 2 shown]
.LBB0_7:
	s_or_b64 exec, exec, s[10:11]
	s_movk_i32 s8, 0x4f
	v_mul_lo_u16_sdwa v0, v193, s8 dst_sel:DWORD dst_unused:UNUSED_PAD src0_sel:BYTE_0 src1_sel:DWORD
	v_lshrrev_b16_e32 v0, 10, v0
	v_add_u16_e32 v2, 52, v193
	v_mul_lo_u16_e32 v1, 13, v0
	v_mul_lo_u16_sdwa v3, v2, s8 dst_sel:DWORD dst_unused:UNUSED_PAD src0_sel:BYTE_0 src1_sel:DWORD
	v_sub_u16_e32 v1, v193, v1
	v_lshrrev_b16_e32 v3, 10, v3
	v_and_b32_e32 v1, 0xff, v1
	v_mul_lo_u16_e32 v4, 13, v3
	s_load_dwordx4 s[4:7], s[2:3], 0x0
	v_mad_u64_u32 v[24:25], s[2:3], v1, 48, s[0:1]
	v_sub_u16_e32 v2, v2, v4
	v_and_b32_e32 v2, 0xff, v2
	v_mad_u64_u32 v[40:41], s[2:3], v2, 48, s[0:1]
	s_waitcnt lgkmcnt(0)
	; wave barrier
	s_waitcnt lgkmcnt(0)
	global_load_dwordx4 v[8:11], v[24:25], off offset:16
	global_load_dwordx4 v[12:15], v[24:25], off
	global_load_dwordx4 v[4:7], v[40:41], off offset:16
	global_load_dwordx4 v[16:19], v[24:25], off offset:32
	global_load_dwordx4 v[20:23], v[40:41], off
	v_add_u16_e32 v24, 0x68, v193
	v_mul_lo_u16_sdwa v25, v24, s8 dst_sel:DWORD dst_unused:UNUSED_PAD src0_sel:BYTE_0 src1_sel:DWORD
	v_lshrrev_b16_e32 v126, 10, v25
	v_mul_lo_u16_e32 v25, 13, v126
	v_sub_u16_e32 v24, v24, v25
	v_and_b32_e32 v127, 0xff, v24
	v_mad_u64_u32 v[42:43], s[2:3], v127, 48, s[0:1]
	global_load_dwordx4 v[36:39], v[40:41], off offset:32
	global_load_dwordx4 v[32:35], v[42:43], off
	global_load_dwordx4 v[28:31], v[42:43], off offset:16
	global_load_dwordx4 v[24:27], v[42:43], off offset:32
	v_mov_b32_e32 v40, 4
	v_lshlrev_b32_sdwa v195, v40, v193 dst_sel:DWORD dst_unused:UNUSED_PAD src0_sel:DWORD src1_sel:WORD_0
	ds_read_b128 v[40:43], v195
	ds_read_b128 v[44:47], v195 offset:832
	ds_read_b128 v[48:51], v195 offset:4992
	;; [unrolled: 1-line block ×11, first 2 shown]
	v_mul_u32_u24_e32 v0, 52, v0
	v_mov_b32_e32 v89, s1
	v_add_lshl_u32 v255, v0, v1, 4
	v_mul_u32_u24_e32 v0, 52, v3
	v_mov_b32_e32 v88, s0
	v_add_lshl_u32 v196, v0, v2, 4
	s_movk_i32 s0, 0x50
	s_waitcnt lgkmcnt(0)
	; wave barrier
	s_waitcnt lgkmcnt(0)
	v_mul_u32_u24_e32 v0, 52, v126
	v_add_lshl_u32 v200, v0, v127, 4
	s_mov_b32 s3, 0xbfebb67a
	v_lshlrev_b32_e32 v0, 6, v193
	s_movk_i32 s11, 0x1000
	s_movk_i32 s10, 0x2000
	v_lshlrev_b32_e32 v197, 4, v193
	s_waitcnt vmcnt(8)
	v_mul_f64 v[94:95], v[50:51], v[10:11]
	s_waitcnt vmcnt(7)
	v_mul_f64 v[90:91], v[58:59], v[14:15]
	v_mul_f64 v[92:93], v[56:57], v[14:15]
	;; [unrolled: 1-line block ×3, first 2 shown]
	s_waitcnt vmcnt(5)
	v_mul_f64 v[98:99], v[74:75], v[18:19]
	v_mul_f64 v[100:101], v[72:73], v[18:19]
	s_waitcnt vmcnt(4)
	v_mul_f64 v[102:103], v[66:67], v[22:23]
	v_mul_f64 v[104:105], v[64:65], v[22:23]
	v_mul_f64 v[106:107], v[54:55], v[6:7]
	v_mul_f64 v[108:109], v[52:53], v[6:7]
	v_fma_f64 v[56:57], v[56:57], v[12:13], -v[90:91]
	s_waitcnt vmcnt(3)
	v_mul_f64 v[110:111], v[82:83], v[38:39]
	v_mul_f64 v[112:113], v[80:81], v[38:39]
	s_waitcnt vmcnt(2)
	v_mul_f64 v[114:115], v[70:71], v[34:35]
	v_mul_f64 v[116:117], v[68:69], v[34:35]
	;; [unrolled: 3-line block ×4, first 2 shown]
	v_fma_f64 v[58:59], v[58:59], v[12:13], v[92:93]
	v_fma_f64 v[48:49], v[48:49], v[8:9], -v[94:95]
	v_fma_f64 v[50:51], v[50:51], v[8:9], v[96:97]
	v_fma_f64 v[72:73], v[72:73], v[16:17], -v[98:99]
	;; [unrolled: 2-line block ×8, first 2 shown]
	v_fma_f64 v[86:87], v[86:87], v[24:25], v[124:125]
	v_add_f64 v[90:91], v[40:41], -v[48:49]
	v_add_f64 v[92:93], v[42:43], -v[50:51]
	;; [unrolled: 1-line block ×12, first 2 shown]
	v_fma_f64 v[80:81], v[40:41], 2.0, -v[90:91]
	v_fma_f64 v[82:83], v[42:43], 2.0, -v[92:93]
	;; [unrolled: 1-line block ×12, first 2 shown]
	v_add_f64 v[44:45], v[72:73], -v[54:55]
	v_add_f64 v[46:47], v[74:75], v[52:53]
	v_add_f64 v[52:53], v[80:81], -v[56:57]
	v_add_f64 v[54:55], v[82:83], -v[58:59]
	;; [unrolled: 1-line block ×5, first 2 shown]
	v_add_f64 v[42:43], v[92:93], v[48:49]
	v_add_f64 v[64:65], v[98:99], -v[68:69]
	v_add_f64 v[66:67], v[100:101], -v[70:71]
	;; [unrolled: 1-line block ×3, first 2 shown]
	v_add_f64 v[50:51], v[96:97], v[76:77]
	v_fma_f64 v[68:69], v[72:73], 2.0, -v[44:45]
	v_fma_f64 v[70:71], v[74:75], 2.0, -v[46:47]
	;; [unrolled: 1-line block ×12, first 2 shown]
	ds_write_b128 v255, v[72:75]
	ds_write_b128 v255, v[56:59] offset:208
	ds_write_b128 v255, v[52:55] offset:416
	;; [unrolled: 1-line block ×3, first 2 shown]
	ds_write_b128 v196, v[76:79]
	ds_write_b128 v196, v[68:71] offset:208
	ds_write_b128 v196, v[60:63] offset:416
	;; [unrolled: 1-line block ×3, first 2 shown]
	v_mad_u64_u32 v[60:61], s[0:1], v193, s0, v[88:89]
	ds_write_b128 v200, v[80:83]
	ds_write_b128 v200, v[84:87] offset:208
	ds_write_b128 v200, v[64:67] offset:416
	;; [unrolled: 1-line block ×3, first 2 shown]
	s_waitcnt lgkmcnt(0)
	; wave barrier
	s_waitcnt lgkmcnt(0)
	global_load_dwordx4 v[56:59], v[60:61], off offset:624
	global_load_dwordx4 v[52:55], v[60:61], off offset:640
	;; [unrolled: 1-line block ×5, first 2 shown]
	ds_read_b128 v[62:65], v195
	ds_read_b128 v[66:69], v195 offset:832
	ds_read_b128 v[70:73], v195 offset:1664
	;; [unrolled: 1-line block ×11, first 2 shown]
	s_mov_b32 s0, 0xe8584caa
	s_mov_b32 s1, 0x3febb67a
	;; [unrolled: 1-line block ×3, first 2 shown]
	s_waitcnt lgkmcnt(0)
	; wave barrier
	s_waitcnt vmcnt(4) lgkmcnt(0)
	v_mul_f64 v[110:111], v[72:73], v[58:59]
	v_mul_f64 v[112:113], v[70:71], v[58:59]
	s_waitcnt vmcnt(2)
	v_mul_f64 v[118:119], v[88:89], v[50:51]
	v_mul_f64 v[120:121], v[86:87], v[50:51]
	s_waitcnt vmcnt(0)
	v_mul_f64 v[126:127], v[104:105], v[42:43]
	v_mul_f64 v[128:129], v[102:103], v[42:43]
	;; [unrolled: 1-line block ×6, first 2 shown]
	v_fma_f64 v[86:87], v[86:87], v[48:49], -v[118:119]
	v_fma_f64 v[88:89], v[88:89], v[48:49], v[120:121]
	v_fma_f64 v[102:103], v[102:103], v[40:41], -v[126:127]
	v_fma_f64 v[104:105], v[104:105], v[40:41], v[128:129]
	v_mul_f64 v[132:133], v[74:75], v[58:59]
	v_mul_f64 v[134:135], v[84:85], v[54:55]
	;; [unrolled: 1-line block ×3, first 2 shown]
	v_fma_f64 v[70:71], v[70:71], v[56:57], -v[110:111]
	v_fma_f64 v[72:73], v[72:73], v[56:57], v[112:113]
	v_fma_f64 v[78:79], v[78:79], v[52:53], -v[114:115]
	v_fma_f64 v[80:81], v[80:81], v[52:53], v[116:117]
	;; [unrolled: 2-line block ×3, first 2 shown]
	v_add_f64 v[120:121], v[86:87], v[102:103]
	v_add_f64 v[122:123], v[88:89], v[104:105]
	v_mul_f64 v[130:131], v[76:77], v[58:59]
	v_mul_f64 v[136:137], v[82:83], v[54:55]
	;; [unrolled: 1-line block ×7, first 2 shown]
	v_fma_f64 v[112:113], v[76:77], v[56:57], v[132:133]
	v_fma_f64 v[114:115], v[82:83], v[52:53], -v[134:135]
	v_fma_f64 v[98:99], v[98:99], v[44:45], -v[142:143]
	v_add_f64 v[76:77], v[78:79], v[94:95]
	v_add_f64 v[82:83], v[80:81], -v[96:97]
	v_add_f64 v[116:117], v[64:65], v[80:81]
	v_add_f64 v[80:81], v[80:81], v[96:97]
	;; [unrolled: 1-line block ×3, first 2 shown]
	v_add_f64 v[124:125], v[88:89], -v[104:105]
	v_add_f64 v[88:89], v[72:73], v[88:89]
	v_add_f64 v[86:87], v[86:87], -v[102:103]
	v_fma_f64 v[72:73], v[122:123], -0.5, v[72:73]
	v_fma_f64 v[70:71], v[120:121], -0.5, v[70:71]
	v_fma_f64 v[110:111], v[74:75], v[56:57], -v[130:131]
	v_fma_f64 v[90:91], v[90:91], v[48:49], -v[138:139]
	v_fma_f64 v[92:93], v[92:93], v[48:49], v[140:141]
	v_fma_f64 v[106:107], v[106:107], v[40:41], -v[147:148]
	v_fma_f64 v[108:109], v[108:109], v[40:41], v[149:150]
	v_add_f64 v[74:75], v[62:63], v[78:79]
	v_add_f64 v[128:129], v[114:115], v[98:99]
	v_fma_f64 v[62:63], v[76:77], -0.5, v[62:63]
	v_fma_f64 v[64:65], v[80:81], -0.5, v[64:65]
	v_fma_f64 v[76:77], v[86:87], s[2:3], v[72:73]
	v_fma_f64 v[80:81], v[124:125], s[2:3], v[70:71]
	;; [unrolled: 1-line block ×4, first 2 shown]
	v_add_f64 v[78:79], v[78:79], -v[94:95]
	v_add_f64 v[126:127], v[66:67], v[114:115]
	v_add_f64 v[132:133], v[90:91], v[106:107]
	;; [unrolled: 1-line block ×7, first 2 shown]
	v_fma_f64 v[96:97], v[128:129], -0.5, v[66:67]
	v_mul_f64 v[66:67], v[76:77], s[0:1]
	v_mul_f64 v[104:105], v[80:81], -0.5
	v_mul_f64 v[116:117], v[70:71], s[2:3]
	v_mul_f64 v[118:119], v[72:73], -0.5
	v_fma_f64 v[84:85], v[84:85], v[52:53], v[136:137]
	v_fma_f64 v[100:101], v[100:101], v[44:45], v[145:146]
	v_add_f64 v[122:123], v[90:91], -v[106:107]
	v_fma_f64 v[102:103], v[132:133], -0.5, v[110:111]
	v_fma_f64 v[124:125], v[82:83], s[0:1], v[62:63]
	v_fma_f64 v[82:83], v[82:83], s[2:3], v[62:63]
	v_fma_f64 v[66:67], v[70:71], 0.5, v[66:67]
	v_fma_f64 v[72:73], v[72:73], s[0:1], v[104:105]
	v_fma_f64 v[104:105], v[76:77], 0.5, v[116:117]
	v_fma_f64 v[116:117], v[80:81], s[2:3], v[118:119]
	v_fma_f64 v[118:119], v[120:121], -0.5, v[112:113]
	v_add_f64 v[62:63], v[74:75], v[86:87]
	v_add_f64 v[70:71], v[74:75], -v[86:87]
	v_add_f64 v[86:87], v[92:93], -v[108:109]
	;; [unrolled: 1-line block ×3, first 2 shown]
	v_add_f64 v[120:121], v[84:85], v[100:101]
	v_add_f64 v[84:85], v[68:69], v[84:85]
	v_fma_f64 v[128:129], v[78:79], s[2:3], v[64:65]
	v_fma_f64 v[132:133], v[78:79], s[0:1], v[64:65]
	v_add_f64 v[64:65], v[94:95], v[88:89]
	v_add_f64 v[78:79], v[82:83], v[72:73]
	v_add_f64 v[82:83], v[82:83], -v[72:73]
	v_add_f64 v[72:73], v[94:95], -v[88:89]
	v_fma_f64 v[88:89], v[122:123], s[2:3], v[118:119]
	v_fma_f64 v[94:95], v[86:87], s[2:3], v[102:103]
	v_fma_f64 v[86:87], v[86:87], s[0:1], v[102:103]
	v_add_f64 v[74:75], v[124:125], v[66:67]
	v_add_f64 v[66:67], v[124:125], -v[66:67]
	v_add_f64 v[124:125], v[126:127], v[98:99]
	v_fma_f64 v[126:127], v[130:131], s[0:1], v[96:97]
	v_fma_f64 v[130:131], v[130:131], s[2:3], v[96:97]
	;; [unrolled: 1-line block ×3, first 2 shown]
	v_fma_f64 v[68:69], v[120:121], -0.5, v[68:69]
	v_add_f64 v[98:99], v[114:115], -v[98:99]
	v_add_f64 v[100:101], v[84:85], v[100:101]
	v_add_f64 v[84:85], v[110:111], v[90:91]
	;; [unrolled: 1-line block ×3, first 2 shown]
	v_mul_f64 v[90:91], v[88:89], s[0:1]
	v_mul_f64 v[110:111], v[86:87], s[2:3]
	v_mul_f64 v[102:103], v[94:95], -0.5
	v_mul_f64 v[112:113], v[96:97], -0.5
	v_fma_f64 v[114:115], v[98:99], s[2:3], v[68:69]
	v_fma_f64 v[118:119], v[98:99], s[0:1], v[68:69]
	v_add_f64 v[98:99], v[84:85], v[106:107]
	v_add_f64 v[108:109], v[92:93], v[108:109]
	v_fma_f64 v[106:107], v[86:87], 0.5, v[90:91]
	v_fma_f64 v[110:111], v[88:89], 0.5, v[110:111]
	v_fma_f64 v[120:121], v[96:97], s[0:1], v[102:103]
	v_fma_f64 v[112:113], v[94:95], s[2:3], v[112:113]
	v_add_f64 v[76:77], v[128:129], v[104:105]
	v_add_f64 v[80:81], v[132:133], v[116:117]
	v_add_f64 v[68:69], v[128:129], -v[104:105]
	v_add_f64 v[84:85], v[132:133], -v[116:117]
	v_add_f64 v[86:87], v[124:125], v[98:99]
	v_add_f64 v[88:89], v[100:101], v[108:109]
	v_sub_co_u32_e64 v0, s[0:1], v60, v0
	v_add_f64 v[90:91], v[126:127], v[106:107]
	v_add_f64 v[92:93], v[114:115], v[110:111]
	v_subbrev_co_u32_e64 v1, s[0:1], 0, v61, s[0:1]
	v_add_f64 v[94:95], v[130:131], v[120:121]
	v_add_f64 v[96:97], v[118:119], v[112:113]
	v_add_f64 v[98:99], v[124:125], -v[98:99]
	v_add_f64 v[102:103], v[126:127], -v[106:107]
	;; [unrolled: 1-line block ×6, first 2 shown]
	ds_write_b128 v195, v[62:65]
	ds_write_b128 v195, v[74:77] offset:832
	ds_write_b128 v195, v[78:81] offset:1664
	;; [unrolled: 1-line block ×11, first 2 shown]
	v_add_co_u32_e64 v80, s[0:1], s11, v0
	v_addc_co_u32_e64 v81, s[0:1], 0, v1, s[0:1]
	s_waitcnt lgkmcnt(0)
	; wave barrier
	s_waitcnt lgkmcnt(0)
	global_load_dwordx4 v[60:63], v[80:81], off offset:688
	global_load_dwordx4 v[64:67], v[80:81], off offset:1520
	;; [unrolled: 1-line block ×5, first 2 shown]
	v_add_co_u32_e64 v80, s[0:1], s10, v0
	v_addc_co_u32_e64 v81, s[0:1], 0, v1, s[0:1]
	global_load_dwordx4 v[80:83], v[80:81], off offset:752
	ds_read_b128 v[84:87], v195
	ds_read_b128 v[96:99], v195 offset:832
	ds_read_b128 v[88:91], v195 offset:4992
	;; [unrolled: 1-line block ×11, first 2 shown]
	s_waitcnt vmcnt(5) lgkmcnt(9)
	v_mul_f64 v[132:133], v[90:91], v[62:63]
	v_mul_f64 v[134:135], v[88:89], v[62:63]
	s_waitcnt vmcnt(4) lgkmcnt(8)
	v_mul_f64 v[136:137], v[94:95], v[66:67]
	v_mul_f64 v[138:139], v[92:93], v[66:67]
	;; [unrolled: 3-line block ×4, first 2 shown]
	v_fma_f64 v[88:89], v[88:89], v[60:61], -v[132:133]
	v_fma_f64 v[90:91], v[90:91], v[60:61], v[134:135]
	v_fma_f64 v[92:93], v[92:93], v[64:65], -v[136:137]
	v_fma_f64 v[94:95], v[94:95], v[64:65], v[138:139]
	s_waitcnt vmcnt(1) lgkmcnt(1)
	v_mul_f64 v[132:133], v[110:111], v[70:71]
	v_mul_f64 v[134:135], v[108:109], v[70:71]
	s_waitcnt vmcnt(0) lgkmcnt(0)
	v_mul_f64 v[136:137], v[126:127], v[82:83]
	v_mul_f64 v[138:139], v[124:125], v[82:83]
	v_fma_f64 v[100:101], v[100:101], v[72:73], -v[140:141]
	v_fma_f64 v[102:103], v[102:103], v[72:73], v[142:143]
	v_fma_f64 v[104:105], v[104:105], v[76:77], -v[145:146]
	v_fma_f64 v[106:107], v[106:107], v[76:77], v[147:148]
	;; [unrolled: 2-line block ×4, first 2 shown]
	v_add_f64 v[88:89], v[84:85], -v[88:89]
	v_add_f64 v[90:91], v[86:87], -v[90:91]
	;; [unrolled: 1-line block ×12, first 2 shown]
	v_fma_f64 v[84:85], v[84:85], 2.0, -v[88:89]
	v_fma_f64 v[86:87], v[86:87], 2.0, -v[90:91]
	;; [unrolled: 1-line block ×12, first 2 shown]
	ds_write_b128 v195, v[84:87]
	ds_write_b128 v195, v[88:91] offset:4992
	ds_write_b128 v195, v[96:99] offset:832
	;; [unrolled: 1-line block ×11, first 2 shown]
	s_waitcnt lgkmcnt(0)
	; wave barrier
	s_waitcnt lgkmcnt(0)
	s_and_saveexec_b64 s[2:3], vcc
	s_cbranch_execz .LBB0_9
; %bb.8:
	s_add_u32 s8, s12, 0x2700
	s_addc_u32 s9, s13, 0
	global_load_dwordx4 v[138:141], v194, s[8:9]
	ds_read_b128 v[134:137], v195
	v_add_co_u32_e64 v133, s[0:1], s8, v194
	v_mov_b32_e32 v0, s9
	v_addc_co_u32_e64 v132, s[0:1], 0, v0, s[0:1]
	v_or_b32_e32 v0, 0x1800, v194
	s_waitcnt vmcnt(0) lgkmcnt(0)
	v_mul_f64 v[142:143], v[136:137], v[140:141]
	v_fma_f64 v[145:146], v[134:135], v[138:139], -v[142:143]
	v_mul_f64 v[134:135], v[134:135], v[140:141]
	v_fma_f64 v[147:148], v[136:137], v[138:139], v[134:135]
	global_load_dwordx4 v[138:141], v194, s[8:9] offset:768
	ds_write_b128 v195, v[145:148]
	ds_read_b128 v[134:137], v197 offset:768
	s_waitcnt vmcnt(0) lgkmcnt(0)
	v_mul_f64 v[142:143], v[136:137], v[140:141]
	v_fma_f64 v[145:146], v[134:135], v[138:139], -v[142:143]
	v_mul_f64 v[134:135], v[134:135], v[140:141]
	v_fma_f64 v[147:148], v[136:137], v[138:139], v[134:135]
	global_load_dwordx4 v[138:141], v194, s[8:9] offset:1536
	ds_read_b128 v[134:137], v197 offset:1536
	ds_write_b128 v197, v[145:148] offset:768
	s_waitcnt vmcnt(0) lgkmcnt(1)
	v_mul_f64 v[142:143], v[136:137], v[140:141]
	v_fma_f64 v[145:146], v[134:135], v[138:139], -v[142:143]
	v_mul_f64 v[134:135], v[134:135], v[140:141]
	v_fma_f64 v[147:148], v[136:137], v[138:139], v[134:135]
	global_load_dwordx4 v[138:141], v194, s[8:9] offset:2304
	ds_read_b128 v[134:137], v197 offset:2304
	ds_write_b128 v197, v[145:148] offset:1536
	;; [unrolled: 8-line block ×4, first 2 shown]
	s_waitcnt vmcnt(0) lgkmcnt(1)
	v_mul_f64 v[142:143], v[136:137], v[140:141]
	v_fma_f64 v[145:146], v[134:135], v[138:139], -v[142:143]
	v_mul_f64 v[134:135], v[134:135], v[140:141]
	v_add_co_u32_e64 v142, s[0:1], s11, v133
	v_addc_co_u32_e64 v143, s[0:1], 0, v132, s[0:1]
	v_fma_f64 v[147:148], v[136:137], v[138:139], v[134:135]
	global_load_dwordx4 v[138:141], v[142:143], off offset:512
	ds_read_b128 v[134:137], v197 offset:4608
	ds_write_b128 v197, v[145:148] offset:3840
	s_waitcnt vmcnt(0) lgkmcnt(1)
	v_mul_f64 v[145:146], v[136:137], v[140:141]
	v_fma_f64 v[145:146], v[134:135], v[138:139], -v[145:146]
	v_mul_f64 v[134:135], v[134:135], v[140:141]
	v_fma_f64 v[147:148], v[136:137], v[138:139], v[134:135]
	global_load_dwordx4 v[138:141], v[142:143], off offset:1280
	ds_read_b128 v[134:137], v197 offset:5376
	ds_write_b128 v197, v[145:148] offset:4608
	s_waitcnt vmcnt(0) lgkmcnt(1)
	v_mul_f64 v[145:146], v[136:137], v[140:141]
	v_fma_f64 v[145:146], v[134:135], v[138:139], -v[145:146]
	v_mul_f64 v[134:135], v[134:135], v[140:141]
	v_fma_f64 v[147:148], v[136:137], v[138:139], v[134:135]
	global_load_dwordx4 v[138:141], v0, s[8:9]
	ds_read_b128 v[134:137], v197 offset:6144
	v_or_b32_e32 v0, 0x2400, v194
	ds_write_b128 v197, v[145:148] offset:5376
	s_waitcnt vmcnt(0) lgkmcnt(1)
	v_mul_f64 v[145:146], v[136:137], v[140:141]
	v_fma_f64 v[145:146], v[134:135], v[138:139], -v[145:146]
	v_mul_f64 v[134:135], v[134:135], v[140:141]
	v_fma_f64 v[147:148], v[136:137], v[138:139], v[134:135]
	global_load_dwordx4 v[138:141], v[142:143], off offset:2816
	ds_read_b128 v[134:137], v197 offset:6912
	ds_write_b128 v197, v[145:148] offset:6144
	s_waitcnt vmcnt(0) lgkmcnt(1)
	v_mul_f64 v[145:146], v[136:137], v[140:141]
	v_fma_f64 v[145:146], v[134:135], v[138:139], -v[145:146]
	v_mul_f64 v[134:135], v[134:135], v[140:141]
	v_fma_f64 v[147:148], v[136:137], v[138:139], v[134:135]
	global_load_dwordx4 v[138:141], v[142:143], off offset:3584
	ds_read_b128 v[134:137], v197 offset:7680
	ds_write_b128 v197, v[145:148] offset:6912
	s_waitcnt vmcnt(0) lgkmcnt(1)
	v_mul_f64 v[142:143], v[136:137], v[140:141]
	v_fma_f64 v[145:146], v[134:135], v[138:139], -v[142:143]
	v_mul_f64 v[134:135], v[134:135], v[140:141]
	v_fma_f64 v[147:148], v[136:137], v[138:139], v[134:135]
	v_add_co_u32_e64 v138, s[0:1], s10, v133
	v_addc_co_u32_e64 v139, s[0:1], 0, v132, s[0:1]
	global_load_dwordx4 v[138:141], v[138:139], off offset:256
	ds_read_b128 v[134:137], v197 offset:8448
	ds_write_b128 v197, v[145:148] offset:7680
	s_waitcnt vmcnt(0) lgkmcnt(1)
	v_mul_f64 v[132:133], v[136:137], v[140:141]
	v_fma_f64 v[132:133], v[134:135], v[138:139], -v[132:133]
	v_mul_f64 v[134:135], v[134:135], v[140:141]
	v_fma_f64 v[134:135], v[136:137], v[138:139], v[134:135]
	global_load_dwordx4 v[136:139], v0, s[8:9]
	ds_write_b128 v197, v[132:135] offset:8448
	ds_read_b128 v[132:135], v197 offset:9216
	s_waitcnt vmcnt(0) lgkmcnt(0)
	v_mul_f64 v[140:141], v[134:135], v[138:139]
	v_fma_f64 v[140:141], v[132:133], v[136:137], -v[140:141]
	v_mul_f64 v[132:133], v[132:133], v[138:139]
	v_fma_f64 v[142:143], v[134:135], v[136:137], v[132:133]
	ds_write_b128 v197, v[140:143] offset:9216
.LBB0_9:
	s_or_b64 exec, exec, s[2:3]
	s_waitcnt lgkmcnt(0)
	; wave barrier
	s_waitcnt lgkmcnt(0)
	s_and_saveexec_b64 s[0:1], vcc
	s_cbranch_execz .LBB0_11
; %bb.10:
	ds_read_b128 v[84:87], v195
	ds_read_b128 v[88:91], v195 offset:768
	ds_read_b128 v[96:99], v195 offset:1536
	;; [unrolled: 1-line block ×12, first 2 shown]
.LBB0_11:
	s_or_b64 exec, exec, s[0:1]
	s_waitcnt lgkmcnt(0)
	; wave barrier
	s_waitcnt lgkmcnt(0)
	s_and_saveexec_b64 s[0:1], vcc
	s_cbranch_execz .LBB0_13
; %bb.12:
	v_add_f64 v[191:192], v[88:89], -v[216:217]
	s_mov_b32 s18, 0x4bc48dbf
	s_mov_b32 s19, 0xbfcea1e5
	v_add_f64 v[189:190], v[96:97], -v[124:125]
	v_add_f64 v[159:160], v[218:219], v[90:91]
	s_mov_b32 s16, 0x93053d00
	s_mov_b32 s21, 0x3fddbe06
	;; [unrolled: 1-line block ×3, first 2 shown]
	v_mul_f64 v[140:141], v[191:192], s[18:19]
	s_mov_b32 s17, 0xbfef11f4
	v_add_f64 v[163:164], v[92:93], -v[128:129]
	v_mul_f64 v[142:143], v[189:190], s[20:21]
	v_add_f64 v[155:156], v[126:127], v[98:99]
	v_add_f64 v[171:172], v[90:91], -v[218:219]
	s_mov_b32 s26, 0x24c2f84
	s_mov_b32 s22, 0xe00740e9
	v_fma_f64 v[161:162], v[159:160], s[16:17], v[140:141]
	s_mov_b32 s27, 0xbfe5384d
	s_mov_b32 s23, 0x3fec55a7
	v_add_f64 v[153:154], v[112:113], -v[108:109]
	v_mul_f64 v[175:176], v[163:164], s[26:27]
	v_add_f64 v[157:158], v[94:95], v[130:131]
	v_fma_f64 v[165:166], v[155:156], s[22:23], v[142:143]
	v_add_f64 v[169:170], v[98:99], -v[126:127]
	v_add_f64 v[173:174], v[86:87], v[161:162]
	v_add_f64 v[167:168], v[216:217], v[88:89]
	v_mul_f64 v[181:182], v[171:172], s[18:19]
	s_mov_b32 s38, 0x42a4c3d2
	s_mov_b32 s24, 0xd0032e0c
	;; [unrolled: 1-line block ×4, first 2 shown]
	v_mul_f64 v[138:139], v[153:154], s[38:39]
	v_add_f64 v[161:162], v[114:115], v[110:111]
	v_fma_f64 v[177:178], v[157:158], s[24:25], v[175:176]
	v_add_f64 v[179:180], v[165:166], v[173:174]
	v_add_f64 v[173:174], v[94:95], -v[130:131]
	v_add_f64 v[165:166], v[124:125], v[96:97]
	v_mul_f64 v[201:202], v[169:170], s[20:21]
	v_fma_f64 v[185:186], v[167:168], s[16:17], -v[181:182]
	v_fma_f64 v[140:141], v[159:160], s[16:17], -v[140:141]
	s_mov_b32 s28, 0x1ea71119
	s_mov_b32 s29, 0x3fe22d96
	v_add_f64 v[151:152], v[100:101], -v[120:121]
	v_fma_f64 v[187:188], v[161:162], s[28:29], v[138:139]
	v_add_f64 v[177:178], v[177:178], v[179:180]
	v_add_f64 v[183:184], v[114:115], -v[110:111]
	v_add_f64 v[179:180], v[92:93], v[128:129]
	v_mul_f64 v[203:204], v[173:174], s[26:27]
	v_fma_f64 v[205:206], v[165:166], s[22:23], -v[201:202]
	v_add_f64 v[207:208], v[84:85], v[185:186]
	v_fma_f64 v[142:143], v[155:156], s[22:23], -v[142:143]
	v_add_f64 v[140:141], v[86:87], v[140:141]
	s_mov_b32 s10, 0x2ef20147
	s_mov_b32 s11, 0xbfedeba7
	buffer_store_dword v216, off, s[48:51], 0 ; 4-byte Folded Spill
	s_nop 0
	buffer_store_dword v217, off, s[48:51], 0 offset:4 ; 4-byte Folded Spill
	buffer_store_dword v218, off, s[48:51], 0 offset:8 ; 4-byte Folded Spill
	;; [unrolled: 1-line block ×3, first 2 shown]
	v_add_f64 v[149:150], v[116:117], -v[104:105]
	v_add_f64 v[147:148], v[122:123], v[102:103]
	v_mul_f64 v[132:133], v[151:152], s[10:11]
	v_add_f64 v[209:210], v[187:188], v[177:178]
	v_add_f64 v[185:186], v[102:103], -v[122:123]
	v_add_f64 v[177:178], v[112:113], v[108:109]
	v_mul_f64 v[211:212], v[183:184], s[38:39]
	v_fma_f64 v[213:214], v[179:180], s[24:25], -v[203:204]
	v_add_f64 v[205:206], v[205:206], v[207:208]
	v_fma_f64 v[207:208], v[157:158], s[24:25], -v[175:176]
	v_add_f64 v[140:141], v[142:143], v[140:141]
	v_fma_f64 v[217:218], v[167:168], s[16:17], v[181:182]
	s_mov_b32 s30, 0x66966769
	s_mov_b32 s8, 0xb2365da1
	;; [unrolled: 1-line block ×4, first 2 shown]
	v_add_f64 v[145:146], v[106:107], v[118:119]
	v_mul_f64 v[134:135], v[149:150], s[30:31]
	v_fma_f64 v[136:137], v[147:148], s[8:9], v[132:133]
	v_add_f64 v[187:188], v[118:119], -v[106:107]
	v_add_f64 v[175:176], v[120:121], v[100:101]
	v_mul_f64 v[142:143], v[185:186], s[10:11]
	v_fma_f64 v[215:216], v[177:178], s[28:29], -v[211:212]
	v_add_f64 v[205:206], v[213:214], v[205:206]
	v_fma_f64 v[138:139], v[161:162], s[28:29], -v[138:139]
	v_add_f64 v[140:141], v[207:208], v[140:141]
	v_fma_f64 v[201:202], v[165:166], s[22:23], v[201:202]
	v_add_f64 v[217:218], v[84:85], v[217:218]
	s_mov_b32 s2, 0xebaa3ed8
	s_mov_b32 s3, 0x3fbedb7d
	v_add_f64 v[181:182], v[104:105], v[116:117]
	v_mul_f64 v[207:208], v[187:188], s[30:31]
	v_fma_f64 v[213:214], v[175:176], s[8:9], -v[142:143]
	v_add_f64 v[205:206], v[215:216], v[205:206]
	v_add_f64 v[138:139], v[138:139], v[140:141]
	v_fma_f64 v[140:141], v[145:146], s[2:3], v[134:135]
	v_add_f64 v[136:137], v[136:137], v[209:210]
	v_fma_f64 v[203:204], v[179:180], s[24:25], v[203:204]
	v_add_f64 v[201:202], v[201:202], v[217:218]
	v_mul_f64 v[215:216], v[191:192], s[26:27]
	v_fma_f64 v[132:133], v[147:148], s[8:9], -v[132:133]
	v_fma_f64 v[209:210], v[181:182], s[2:3], -v[207:208]
	v_add_f64 v[205:206], v[213:214], v[205:206]
	v_fma_f64 v[213:214], v[145:146], s[2:3], -v[134:135]
	v_add_f64 v[134:135], v[140:141], v[136:137]
	v_mul_f64 v[140:141], v[189:190], s[30:31]
	v_add_f64 v[201:202], v[203:204], v[201:202]
	v_fma_f64 v[203:204], v[159:160], s[24:25], v[215:216]
	v_fma_f64 v[215:216], v[159:160], s[24:25], -v[215:216]
	s_mov_b32 s35, 0xbfea55e2
	s_mov_b32 s34, s38
	v_add_f64 v[138:139], v[132:133], v[138:139]
	v_fma_f64 v[211:212], v[177:178], s[28:29], v[211:212]
	v_add_f64 v[132:133], v[209:210], v[205:206]
	v_fma_f64 v[136:137], v[181:182], s[2:3], v[207:208]
	v_mul_f64 v[205:206], v[171:172], s[26:27]
	v_mul_f64 v[207:208], v[163:164], s[34:35]
	v_fma_f64 v[209:210], v[155:156], s[2:3], v[140:141]
	v_add_f64 v[203:204], v[86:87], v[203:204]
	v_fma_f64 v[140:141], v[155:156], s[2:3], -v[140:141]
	v_add_f64 v[215:216], v[86:87], v[215:216]
	s_mov_b32 s43, 0x3fcea1e5
	s_mov_b32 s42, s18
	v_add_f64 v[138:139], v[213:214], v[138:139]
	v_add_f64 v[201:202], v[211:212], v[201:202]
	v_mul_f64 v[211:212], v[169:170], s[30:31]
	v_fma_f64 v[213:214], v[167:168], s[24:25], -v[205:206]
	v_mul_f64 v[217:218], v[153:154], s[42:43]
	v_fma_f64 v[219:220], v[157:158], s[28:29], v[207:208]
	v_add_f64 v[203:204], v[209:210], v[203:204]
	v_fma_f64 v[207:208], v[157:158], s[28:29], -v[207:208]
	v_add_f64 v[140:141], v[140:141], v[215:216]
	v_mul_f64 v[209:210], v[151:152], s[20:21]
	v_mul_f64 v[221:222], v[173:174], s[34:35]
	v_fma_f64 v[223:224], v[165:166], s[2:3], -v[211:212]
	v_add_f64 v[213:214], v[84:85], v[213:214]
	v_fma_f64 v[225:226], v[161:162], s[16:17], v[217:218]
	v_add_f64 v[203:204], v[219:220], v[203:204]
	v_fma_f64 v[217:218], v[161:162], s[16:17], -v[217:218]
	v_add_f64 v[140:141], v[207:208], v[140:141]
	v_fma_f64 v[205:206], v[167:168], s[24:25], v[205:206]
	v_fma_f64 v[142:143], v[175:176], s[8:9], v[142:143]
	v_mul_f64 v[219:220], v[149:150], s[10:11]
	v_mul_f64 v[227:228], v[183:184], s[42:43]
	v_fma_f64 v[229:230], v[179:180], s[28:29], -v[221:222]
	v_add_f64 v[213:214], v[223:224], v[213:214]
	v_fma_f64 v[223:224], v[147:148], s[22:23], v[209:210]
	v_add_f64 v[203:204], v[225:226], v[203:204]
	v_fma_f64 v[209:210], v[147:148], s[22:23], -v[209:210]
	v_add_f64 v[140:141], v[217:218], v[140:141]
	v_fma_f64 v[211:212], v[165:166], s[2:3], v[211:212]
	v_add_f64 v[205:206], v[84:85], v[205:206]
	v_add_f64 v[142:143], v[142:143], v[201:202]
	v_mul_f64 v[201:202], v[185:186], s[20:21]
	v_fma_f64 v[215:216], v[177:178], s[16:17], -v[227:228]
	v_add_f64 v[213:214], v[229:230], v[213:214]
	v_fma_f64 v[225:226], v[145:146], s[8:9], v[219:220]
	v_add_f64 v[203:204], v[223:224], v[203:204]
	v_mul_f64 v[217:218], v[191:192], s[10:11]
	v_add_f64 v[209:210], v[209:210], v[140:141]
	v_fma_f64 v[140:141], v[179:180], s[28:29], v[221:222]
	v_add_f64 v[205:206], v[211:212], v[205:206]
	v_mul_f64 v[211:212], v[171:172], s[10:11]
	s_mov_b32 s41, 0x3fe5384d
	s_mov_b32 s40, s26
	v_fma_f64 v[223:224], v[175:176], s[22:23], -v[201:202]
	v_add_f64 v[213:214], v[215:216], v[213:214]
	v_add_f64 v[136:137], v[136:137], v[142:143]
	;; [unrolled: 1-line block ×3, first 2 shown]
	v_fma_f64 v[215:216], v[145:146], s[8:9], -v[219:220]
	v_mul_f64 v[219:220], v[189:190], s[40:41]
	v_fma_f64 v[221:222], v[159:160], s[8:9], v[217:218]
	v_add_f64 v[140:141], v[140:141], v[205:206]
	v_mul_f64 v[225:226], v[169:170], s[40:41]
	v_fma_f64 v[205:206], v[167:168], s[8:9], -v[211:212]
	v_fma_f64 v[217:218], v[159:160], s[8:9], -v[217:218]
	v_add_f64 v[213:214], v[223:224], v[213:214]
	v_fma_f64 v[223:224], v[177:178], s[16:17], v[227:228]
	v_mul_f64 v[227:228], v[163:164], s[20:21]
	v_fma_f64 v[229:230], v[155:156], s[24:25], v[219:220]
	v_add_f64 v[221:222], v[86:87], v[221:222]
	v_mul_f64 v[231:232], v[173:174], s[20:21]
	v_fma_f64 v[233:234], v[165:166], s[24:25], -v[225:226]
	v_add_f64 v[205:206], v[84:85], v[205:206]
	v_fma_f64 v[219:220], v[155:156], s[24:25], -v[219:220]
	v_add_f64 v[217:218], v[86:87], v[217:218]
	s_mov_b32 s37, 0xbfefc445
	s_mov_b32 s36, s30
	v_mul_f64 v[207:208], v[187:188], s[10:11]
	v_mul_f64 v[235:236], v[153:154], s[36:37]
	v_fma_f64 v[237:238], v[157:158], s[22:23], v[227:228]
	v_add_f64 v[221:222], v[229:230], v[221:222]
	v_add_f64 v[140:141], v[223:224], v[140:141]
	v_mul_f64 v[223:224], v[183:184], s[36:37]
	v_fma_f64 v[229:230], v[179:180], s[22:23], -v[231:232]
	v_add_f64 v[205:206], v[233:234], v[205:206]
	v_fma_f64 v[227:228], v[157:158], s[22:23], -v[227:228]
	v_add_f64 v[217:218], v[219:220], v[217:218]
	v_fma_f64 v[203:204], v[181:182], s[8:9], -v[207:208]
	v_fma_f64 v[201:202], v[175:176], s[22:23], v[201:202]
	v_mul_f64 v[233:234], v[151:152], s[42:43]
	v_fma_f64 v[239:240], v[161:162], s[2:3], v[235:236]
	v_add_f64 v[221:222], v[237:238], v[221:222]
	v_mul_f64 v[237:238], v[185:186], s[42:43]
	v_fma_f64 v[241:242], v[177:178], s[2:3], -v[223:224]
	v_add_f64 v[205:206], v[229:230], v[205:206]
	v_fma_f64 v[235:236], v[161:162], s[2:3], -v[235:236]
	v_add_f64 v[217:218], v[227:228], v[217:218]
	v_mul_f64 v[229:230], v[149:150], s[38:39]
	v_fma_f64 v[243:244], v[147:148], s[16:17], v[233:234]
	v_add_f64 v[221:222], v[239:240], v[221:222]
	v_mul_f64 v[219:220], v[187:188], s[38:39]
	v_fma_f64 v[239:240], v[175:176], s[16:17], -v[237:238]
	v_add_f64 v[205:206], v[241:242], v[205:206]
	v_add_f64 v[201:202], v[201:202], v[140:141]
	;; [unrolled: 1-line block ×4, first 2 shown]
	v_fma_f64 v[209:210], v[167:168], s[8:9], v[211:212]
	v_fma_f64 v[211:212], v[147:148], s[16:17], -v[233:234]
	v_add_f64 v[213:214], v[235:236], v[217:218]
	v_fma_f64 v[207:208], v[181:182], s[8:9], v[207:208]
	v_fma_f64 v[241:242], v[145:146], s[28:29], v[229:230]
	v_add_f64 v[221:222], v[243:244], v[221:222]
	v_fma_f64 v[227:228], v[181:182], s[28:29], -v[219:220]
	v_add_f64 v[205:206], v[239:240], v[205:206]
	v_fma_f64 v[215:216], v[165:166], s[24:25], v[225:226]
	v_mul_f64 v[217:218], v[191:192], s[36:37]
	v_add_f64 v[209:210], v[84:85], v[209:210]
	v_add_f64 v[211:212], v[211:212], v[213:214]
	v_fma_f64 v[213:214], v[177:178], s[2:3], v[223:224]
	v_mul_f64 v[223:224], v[171:172], s[36:37]
	v_add_f64 v[201:202], v[207:208], v[201:202]
	v_add_f64 v[207:208], v[241:242], v[221:222]
	;; [unrolled: 1-line block ×3, first 2 shown]
	v_fma_f64 v[221:222], v[145:146], s[28:29], -v[229:230]
	v_fma_f64 v[225:226], v[179:180], s[22:23], v[231:232]
	v_mul_f64 v[227:228], v[189:190], s[18:19]
	v_fma_f64 v[229:230], v[159:160], s[2:3], v[217:218]
	v_add_f64 v[209:210], v[215:216], v[209:210]
	v_mul_f64 v[231:232], v[169:170], s[18:19]
	v_fma_f64 v[215:216], v[167:168], s[2:3], -v[223:224]
	s_mov_b32 s39, 0x3fedeba7
	s_mov_b32 s38, s10
	v_mul_f64 v[233:234], v[163:164], s[38:39]
	v_fma_f64 v[235:236], v[155:156], s[16:17], v[227:228]
	v_add_f64 v[229:230], v[86:87], v[229:230]
	v_add_f64 v[209:210], v[225:226], v[209:210]
	v_fma_f64 v[225:226], v[175:176], s[16:17], v[237:238]
	v_mul_f64 v[237:238], v[173:174], s[38:39]
	v_fma_f64 v[239:240], v[165:166], s[16:17], -v[231:232]
	v_add_f64 v[215:216], v[84:85], v[215:216]
	v_mul_f64 v[241:242], v[153:154], s[20:21]
	v_fma_f64 v[243:244], v[157:158], s[8:9], v[233:234]
	v_add_f64 v[229:230], v[235:236], v[229:230]
	v_add_f64 v[209:210], v[213:214], v[209:210]
	v_mul_f64 v[235:236], v[183:184], s[20:21]
	v_fma_f64 v[213:214], v[179:180], s[8:9], -v[237:238]
	v_fma_f64 v[217:218], v[159:160], s[2:3], -v[217:218]
	v_add_f64 v[215:216], v[239:240], v[215:216]
	v_mul_f64 v[239:240], v[151:152], s[34:35]
	v_fma_f64 v[245:246], v[161:162], s[22:23], v[241:242]
	v_add_f64 v[229:230], v[243:244], v[229:230]
	v_mul_f64 v[243:244], v[185:186], s[34:35]
	v_fma_f64 v[247:248], v[177:178], s[22:23], -v[235:236]
	v_fma_f64 v[227:228], v[155:156], s[16:17], -v[227:228]
	v_add_f64 v[217:218], v[86:87], v[217:218]
	v_add_f64 v[213:214], v[213:214], v[215:216]
	v_mul_f64 v[249:250], v[149:150], s[26:27]
	v_fma_f64 v[215:216], v[147:148], s[28:29], v[239:240]
	v_add_f64 v[229:230], v[245:246], v[229:230]
	v_mul_f64 v[245:246], v[187:188], s[26:27]
	v_fma_f64 v[251:252], v[175:176], s[28:29], -v[243:244]
	v_fma_f64 v[233:234], v[157:158], s[8:9], -v[233:234]
	v_add_f64 v[217:218], v[227:228], v[217:218]
	v_add_f64 v[213:214], v[247:248], v[213:214]
	v_fma_f64 v[219:220], v[181:182], s[28:29], v[219:220]
	v_add_f64 v[209:210], v[225:226], v[209:210]
	v_fma_f64 v[225:226], v[145:146], s[24:25], v[249:250]
	v_add_f64 v[215:216], v[215:216], v[229:230]
	v_fma_f64 v[227:228], v[181:182], s[24:25], -v[245:246]
	v_fma_f64 v[229:230], v[161:162], s[22:23], -v[241:242]
	v_add_f64 v[217:218], v[233:234], v[217:218]
	v_add_f64 v[213:214], v[251:252], v[213:214]
	;; [unrolled: 1-line block ×4, first 2 shown]
	v_fma_f64 v[219:220], v[167:168], s[2:3], v[223:224]
	v_mul_f64 v[223:224], v[191:192], s[34:35]
	v_add_f64 v[215:216], v[225:226], v[215:216]
	v_fma_f64 v[221:222], v[147:148], s[28:29], -v[239:240]
	v_add_f64 v[217:218], v[229:230], v[217:218]
	v_add_f64 v[213:214], v[227:228], v[213:214]
	v_fma_f64 v[225:226], v[165:166], s[16:17], v[231:232]
	v_mul_f64 v[227:228], v[171:172], s[34:35]
	v_add_f64 v[219:220], v[84:85], v[219:220]
	v_mul_f64 v[231:232], v[189:190], s[10:11]
	v_fma_f64 v[233:234], v[159:160], s[28:29], v[223:224]
	v_fma_f64 v[229:230], v[145:146], s[24:25], -v[249:250]
	v_add_f64 v[217:218], v[221:222], v[217:218]
	v_fma_f64 v[221:222], v[179:180], s[8:9], v[237:238]
	v_mul_f64 v[237:238], v[169:170], s[10:11]
	v_fma_f64 v[239:240], v[167:168], s[28:29], -v[227:228]
	v_add_f64 v[219:220], v[225:226], v[219:220]
	v_mul_f64 v[225:226], v[163:164], s[18:19]
	v_fma_f64 v[241:242], v[155:156], s[8:9], v[231:232]
	v_add_f64 v[233:234], v[86:87], v[233:234]
	v_fma_f64 v[235:236], v[177:178], s[22:23], v[235:236]
	v_mul_f64 v[247:248], v[173:174], s[18:19]
	v_fma_f64 v[249:250], v[165:166], s[8:9], -v[237:238]
	v_add_f64 v[239:240], v[84:85], v[239:240]
	v_add_f64 v[219:220], v[221:222], v[219:220]
	v_mul_f64 v[221:222], v[153:154], s[40:41]
	v_fma_f64 v[251:252], v[157:158], s[16:17], v[225:226]
	v_add_f64 v[233:234], v[241:242], v[233:234]
	v_fma_f64 v[241:242], v[175:176], s[28:29], v[243:244]
	v_mul_f64 v[243:244], v[183:184], s[40:41]
	v_fma_f64 v[253:254], v[179:180], s[16:17], -v[247:248]
	v_add_f64 v[239:240], v[249:250], v[239:240]
	v_add_f64 v[219:220], v[235:236], v[219:220]
	v_mul_f64 v[235:236], v[151:152], s[30:31]
	v_fma_f64 v[249:250], v[161:162], s[24:25], v[221:222]
	v_add_f64 v[233:234], v[251:252], v[233:234]
	v_fma_f64 v[223:224], v[159:160], s[28:29], -v[223:224]
	v_fma_f64 v[198:199], v[177:178], s[24:25], -v[243:244]
	;; [unrolled: 1-line block ×3, first 2 shown]
	v_add_f64 v[239:240], v[253:254], v[239:240]
	v_mul_f64 v[253:254], v[149:150], s[20:21]
	v_fma_f64 v[0:1], v[147:148], s[2:3], v[235:236]
	v_mul_f64 v[189:190], v[189:190], s[34:35]
	v_add_f64 v[2:3], v[249:250], v[233:234]
	v_mul_f64 v[233:234], v[187:188], s[20:21]
	s_mov_b32 s21, 0xbfddbe06
	v_mul_f64 v[191:192], v[191:192], s[20:21]
	v_add_f64 v[198:199], v[198:199], v[239:240]
	v_add_f64 v[88:89], v[84:85], v[88:89]
	v_fma_f64 v[221:222], v[161:162], s[24:25], -v[221:222]
	v_add_f64 v[90:91], v[86:87], v[90:91]
	v_add_f64 v[239:240], v[0:1], v[2:3]
	v_fma_f64 v[0:1], v[155:156], s[8:9], -v[231:232]
	v_add_f64 v[2:3], v[86:87], v[223:224]
	v_fma_f64 v[223:224], v[167:168], s[28:29], v[227:228]
	v_fma_f64 v[231:232], v[147:148], s[2:3], -v[235:236]
	v_fma_f64 v[235:236], v[159:160], s[22:23], v[191:192]
	v_mul_f64 v[163:164], v[163:164], s[36:37]
	v_add_f64 v[88:89], v[96:97], v[88:89]
	v_mul_f64 v[251:252], v[185:186], s[30:31]
	v_add_f64 v[90:91], v[98:99], v[90:91]
	v_add_f64 v[0:1], v[0:1], v[2:3]
	v_fma_f64 v[2:3], v[165:166], s[8:9], v[237:238]
	v_add_f64 v[223:224], v[84:85], v[223:224]
	v_add_f64 v[235:236], v[86:87], v[235:236]
	v_fma_f64 v[96:97], v[177:178], s[24:25], v[243:244]
	v_mul_f64 v[98:99], v[153:154], s[10:11]
	v_fma_f64 v[153:154], v[157:158], s[2:3], v[163:164]
	v_add_f64 v[88:89], v[92:93], v[88:89]
	v_add_f64 v[0:1], v[225:226], v[0:1]
	v_fma_f64 v[225:226], v[179:180], s[16:17], v[247:248]
	v_add_f64 v[2:3], v[2:3], v[223:224]
	v_fma_f64 v[223:224], v[155:156], s[28:29], v[189:190]
	;; [unrolled: 2-line block ×3, first 2 shown]
	v_mul_f64 v[94:95], v[151:152], s[26:27]
	v_add_f64 v[112:113], v[112:113], v[88:89]
	v_add_f64 v[0:1], v[221:222], v[0:1]
	v_fma_f64 v[227:228], v[145:146], s[22:23], -v[253:254]
	v_add_f64 v[2:3], v[225:226], v[2:3]
	v_add_f64 v[221:222], v[223:224], v[235:236]
	;; [unrolled: 1-line block ×3, first 2 shown]
	v_fma_f64 v[155:156], v[155:156], s[28:29], -v[189:190]
	v_fma_f64 v[245:246], v[181:182], s[24:25], v[245:246]
	v_add_f64 v[241:242], v[241:242], v[219:220]
	v_add_f64 v[0:1], v[231:232], v[0:1]
	v_fma_f64 v[249:250], v[175:176], s[2:3], -v[251:252]
	v_add_f64 v[2:3], v[96:97], v[2:3]
	v_fma_f64 v[96:97], v[161:162], s[8:9], v[98:99]
	v_add_f64 v[151:152], v[153:154], v[221:222]
	v_add_f64 v[90:91], v[102:103], v[90:91]
	v_fma_f64 v[98:99], v[161:162], s[8:9], -v[98:99]
	v_mul_f64 v[102:103], v[187:188], s[18:19]
	v_add_f64 v[88:89], v[227:228], v[0:1]
	v_mul_f64 v[0:1], v[149:150], s[18:19]
	v_add_f64 v[153:154], v[92:93], v[2:3]
	;; [unrolled: 2-line block ×3, first 2 shown]
	v_add_f64 v[96:97], v[100:101], v[112:113]
	v_mul_f64 v[100:101], v[171:172], s[20:21]
	v_fma_f64 v[151:152], v[159:160], s[22:23], -v[191:192]
	v_mul_f64 v[159:160], v[169:170], s[34:35]
	v_add_f64 v[90:91], v[118:119], v[90:91]
	v_mul_f64 v[118:119], v[173:174], s[36:37]
	v_mul_f64 v[112:113], v[185:186], s[26:27]
	v_fma_f64 v[2:3], v[147:148], s[24:25], v[94:95]
	v_add_f64 v[96:97], v[116:117], v[96:97]
	v_fma_f64 v[116:117], v[167:168], s[22:23], v[100:101]
	v_fma_f64 v[100:101], v[167:168], s[22:23], -v[100:101]
	v_add_f64 v[86:87], v[86:87], v[151:152]
	v_fma_f64 v[151:152], v[165:166], s[28:29], v[159:160]
	v_add_f64 v[90:91], v[106:107], v[90:91]
	v_fma_f64 v[106:107], v[165:166], s[28:29], -v[159:160]
	v_fma_f64 v[94:95], v[147:148], s[24:25], -v[94:95]
	v_add_f64 v[96:97], v[104:105], v[96:97]
	v_add_f64 v[104:105], v[84:85], v[116:117]
	;; [unrolled: 1-line block ×3, first 2 shown]
	v_fma_f64 v[100:101], v[157:158], s[2:3], -v[163:164]
	v_add_f64 v[86:87], v[155:156], v[86:87]
	v_fma_f64 v[116:117], v[179:180], s[2:3], v[118:119]
	v_fma_f64 v[118:119], v[179:180], s[2:3], -v[118:119]
	v_add_f64 v[90:91], v[122:123], v[90:91]
	v_add_f64 v[96:97], v[120:121], v[96:97]
	;; [unrolled: 1-line block ×4, first 2 shown]
	v_fma_f64 v[106:107], v[177:178], s[8:9], -v[149:150]
	v_add_f64 v[86:87], v[100:101], v[86:87]
	v_fma_f64 v[100:101], v[177:178], s[8:9], v[149:150]
	v_fma_f64 v[114:115], v[181:182], s[22:23], v[233:234]
	v_add_f64 v[90:91], v[110:111], v[90:91]
	v_add_f64 v[96:97], v[108:109], v[96:97]
	v_add_f64 v[104:105], v[116:117], v[104:105]
	v_add_f64 v[84:85], v[118:119], v[84:85]
	v_add_f64 v[108:109], v[2:3], v[92:93]
	v_add_f64 v[86:87], v[98:99], v[86:87]
	v_fma_f64 v[98:99], v[175:176], s[24:25], v[112:113]
	v_add_f64 v[219:220], v[229:230], v[217:218]
	v_add_f64 v[90:91], v[130:131], v[90:91]
	;; [unrolled: 1-line block ×5, first 2 shown]
	v_fma_f64 v[106:107], v[145:146], s[16:17], -v[0:1]
	v_fma_f64 v[104:105], v[175:176], s[24:25], -v[112:113]
	v_add_f64 v[86:87], v[94:95], v[86:87]
	v_fma_f64 v[94:95], v[181:182], s[16:17], v[102:103]
	v_add_f64 v[90:91], v[126:127], v[90:91]
	v_add_f64 v[96:97], v[124:125], v[96:97]
	;; [unrolled: 1-line block ×3, first 2 shown]
	v_fma_f64 v[100:101], v[145:146], s[16:17], v[0:1]
	buffer_load_dword v0, off, s[48:51], 0  ; 4-byte Folded Reload
	buffer_load_dword v1, off, s[48:51], 0 offset:4 ; 4-byte Folded Reload
	buffer_load_dword v2, off, s[48:51], 0 offset:8 ; 4-byte Folded Reload
	;; [unrolled: 1-line block ×3, first 2 shown]
	v_fma_f64 v[102:103], v[181:182], s[16:17], -v[102:103]
	v_add_f64 v[84:85], v[104:105], v[84:85]
	v_add_f64 v[217:218], v[245:246], v[241:242]
	v_fma_f64 v[229:230], v[145:146], s[22:23], v[253:254]
	v_fma_f64 v[241:242], v[181:182], s[22:23], -v[233:234]
	v_add_f64 v[198:199], v[249:250], v[198:199]
	v_add_f64 v[92:93], v[106:107], v[86:87]
	;; [unrolled: 1-line block ×4, first 2 shown]
	s_waitcnt vmcnt(0)
	v_add_f64 v[2:3], v[2:3], v[90:91]
	v_add_f64 v[0:1], v[0:1], v[96:97]
	;; [unrolled: 1-line block ×4, first 2 shown]
	v_mul_lo_u16_e32 v84, 13, v193
	v_lshlrev_b32_e32 v84, 4, v84
	v_add_f64 v[96:97], v[229:230], v[239:240]
	v_add_f64 v[94:95], v[241:242], v[198:199]
	ds_write_b128 v84, v[0:3]
	ds_write_b128 v84, v[90:93] offset:16
	ds_write_b128 v84, v[86:89] offset:32
	;; [unrolled: 1-line block ×12, first 2 shown]
.LBB0_13:
	s_or_b64 exec, exec, s[0:1]
	s_waitcnt lgkmcnt(0)
	; wave barrier
	s_waitcnt lgkmcnt(0)
	ds_read_b128 v[0:3], v195
	ds_read_b128 v[84:87], v195 offset:832
	ds_read_b128 v[88:91], v195 offset:4992
	;; [unrolled: 1-line block ×11, first 2 shown]
	s_waitcnt lgkmcnt(7)
	v_mul_f64 v[128:129], v[14:15], v[98:99]
	v_mul_f64 v[14:15], v[14:15], v[96:97]
	;; [unrolled: 1-line block ×4, first 2 shown]
	s_waitcnt lgkmcnt(3)
	v_mul_f64 v[132:133], v[18:19], v[114:115]
	v_mul_f64 v[18:19], v[18:19], v[112:113]
	;; [unrolled: 1-line block ×4, first 2 shown]
	v_fma_f64 v[96:97], v[12:13], v[96:97], v[128:129]
	v_fma_f64 v[12:13], v[12:13], v[98:99], -v[14:15]
	v_fma_f64 v[14:15], v[8:9], v[88:89], v[130:131]
	v_fma_f64 v[8:9], v[8:9], v[90:91], -v[10:11]
	v_fma_f64 v[10:11], v[16:17], v[112:113], v[132:133]
	v_fma_f64 v[16:17], v[16:17], v[114:115], -v[18:19]
	v_fma_f64 v[18:19], v[20:21], v[104:105], v[134:135]
	v_fma_f64 v[20:21], v[20:21], v[106:107], -v[22:23]
	v_mul_f64 v[22:23], v[6:7], v[94:95]
	v_mul_f64 v[6:7], v[6:7], v[92:93]
	s_waitcnt lgkmcnt(1)
	v_mul_f64 v[88:89], v[38:39], v[122:123]
	v_mul_f64 v[38:39], v[38:39], v[120:121]
	v_add_f64 v[90:91], v[2:3], -v[8:9]
	v_add_f64 v[8:9], v[12:13], -v[16:17]
	v_add_f64 v[14:15], v[0:1], -v[14:15]
	v_add_f64 v[10:11], v[96:97], -v[10:11]
	v_fma_f64 v[16:17], v[4:5], v[92:93], v[22:23]
	v_fma_f64 v[22:23], v[4:5], v[94:95], -v[6:7]
	v_fma_f64 v[88:89], v[36:37], v[120:121], v[88:89]
	v_fma_f64 v[36:37], v[36:37], v[122:123], -v[38:39]
	v_fma_f64 v[6:7], v[2:3], 2.0, -v[90:91]
	v_fma_f64 v[2:3], v[12:13], 2.0, -v[8:9]
	v_mul_f64 v[12:13], v[34:35], v[110:111]
	v_mul_f64 v[34:35], v[34:35], v[108:109]
	;; [unrolled: 1-line block ×4, first 2 shown]
	s_waitcnt lgkmcnt(0)
	v_mul_f64 v[92:93], v[26:27], v[126:127]
	v_mul_f64 v[26:27], v[26:27], v[124:125]
	v_fma_f64 v[4:5], v[0:1], 2.0, -v[14:15]
	v_fma_f64 v[0:1], v[96:97], 2.0, -v[10:11]
	v_fma_f64 v[12:13], v[32:33], v[108:109], v[12:13]
	v_fma_f64 v[32:33], v[32:33], v[110:111], -v[34:35]
	v_fma_f64 v[34:35], v[28:29], v[116:117], v[38:39]
	v_fma_f64 v[28:29], v[28:29], v[118:119], -v[30:31]
	;; [unrolled: 2-line block ×3, first 2 shown]
	v_add_f64 v[38:39], v[84:85], -v[16:17]
	v_add_f64 v[92:93], v[86:87], -v[22:23]
	;; [unrolled: 1-line block ×8, first 2 shown]
	v_fma_f64 v[34:35], v[84:85], 2.0, -v[38:39]
	v_fma_f64 v[36:37], v[86:87], 2.0, -v[92:93]
	;; [unrolled: 1-line block ×4, first 2 shown]
	v_add_f64 v[0:1], v[4:5], -v[0:1]
	v_add_f64 v[2:3], v[6:7], -v[2:3]
	v_fma_f64 v[84:85], v[100:101], 2.0, -v[88:89]
	v_fma_f64 v[86:87], v[102:103], 2.0, -v[94:95]
	;; [unrolled: 1-line block ×4, first 2 shown]
	v_add_f64 v[8:9], v[14:15], v[8:9]
	v_add_f64 v[10:11], v[90:91], -v[10:11]
	v_add_f64 v[16:17], v[34:35], -v[16:17]
	;; [unrolled: 1-line block ×3, first 2 shown]
	v_add_f64 v[20:21], v[38:39], v[26:27]
	v_add_f64 v[22:23], v[92:93], -v[22:23]
	v_fma_f64 v[4:5], v[4:5], 2.0, -v[0:1]
	v_fma_f64 v[6:7], v[6:7], 2.0, -v[2:3]
	v_add_f64 v[24:25], v[84:85], -v[24:25]
	v_add_f64 v[26:27], v[86:87], -v[32:33]
	v_add_f64 v[28:29], v[88:89], v[28:29]
	v_add_f64 v[30:31], v[94:95], -v[30:31]
	v_fma_f64 v[12:13], v[14:15], 2.0, -v[8:9]
	v_fma_f64 v[14:15], v[90:91], 2.0, -v[10:11]
	;; [unrolled: 1-line block ×10, first 2 shown]
	s_waitcnt lgkmcnt(0)
	; wave barrier
	ds_write_b128 v255, v[4:7]
	ds_write_b128 v255, v[12:15] offset:208
	ds_write_b128 v255, v[0:3] offset:416
	ds_write_b128 v255, v[8:11] offset:624
	ds_write_b128 v196, v[32:35]
	ds_write_b128 v196, v[36:39] offset:208
	ds_write_b128 v196, v[16:19] offset:416
	ds_write_b128 v196, v[20:23] offset:624
	;; [unrolled: 4-line block ×3, first 2 shown]
	s_waitcnt lgkmcnt(0)
	; wave barrier
	s_waitcnt lgkmcnt(0)
	ds_read_b128 v[0:3], v195
	ds_read_b128 v[4:7], v195 offset:832
	ds_read_b128 v[8:11], v195 offset:1664
	;; [unrolled: 1-line block ×7, first 2 shown]
	s_waitcnt lgkmcnt(5)
	v_mul_f64 v[92:93], v[58:59], v[10:11]
	v_mul_f64 v[94:95], v[58:59], v[8:9]
	ds_read_b128 v[32:35], v195 offset:6656
	ds_read_b128 v[36:39], v195 offset:7488
	s_waitcnt lgkmcnt(3)
	v_mul_f64 v[100:101], v[50:51], v[26:27]
	ds_read_b128 v[84:87], v195 offset:8320
	ds_read_b128 v[88:91], v195 offset:9152
	v_mul_f64 v[96:97], v[54:55], v[18:19]
	v_mul_f64 v[98:99], v[54:55], v[16:17]
	;; [unrolled: 1-line block ×3, first 2 shown]
	v_fma_f64 v[8:9], v[56:57], v[8:9], v[92:93]
	v_mul_f64 v[92:93], v[50:51], v[24:25]
	v_fma_f64 v[10:11], v[56:57], v[10:11], -v[94:95]
	s_waitcnt lgkmcnt(3)
	v_mul_f64 v[94:95], v[46:47], v[34:35]
	v_fma_f64 v[24:25], v[48:49], v[24:25], v[100:101]
	s_waitcnt lgkmcnt(1)
	v_mul_f64 v[100:101], v[42:43], v[84:85]
	v_mul_f64 v[58:59], v[58:59], v[12:13]
	v_fma_f64 v[16:17], v[52:53], v[16:17], v[96:97]
	v_fma_f64 v[18:19], v[52:53], v[18:19], -v[98:99]
	v_fma_f64 v[26:27], v[48:49], v[26:27], -v[92:93]
	v_mul_f64 v[92:93], v[54:55], v[22:23]
	v_mul_f64 v[96:97], v[46:47], v[32:33]
	;; [unrolled: 1-line block ×3, first 2 shown]
	v_fma_f64 v[32:33], v[44:45], v[32:33], v[94:95]
	v_fma_f64 v[86:87], v[40:41], v[86:87], -v[100:101]
	v_fma_f64 v[94:95], v[56:57], v[12:13], v[102:103]
	v_mul_f64 v[12:13], v[54:55], v[20:21]
	v_fma_f64 v[54:55], v[56:57], v[14:15], -v[58:59]
	v_mul_f64 v[14:15], v[50:51], v[30:31]
	v_fma_f64 v[56:57], v[52:53], v[20:21], v[92:93]
	v_mul_f64 v[20:21], v[46:47], v[38:39]
	v_fma_f64 v[34:35], v[44:45], v[34:35], -v[96:97]
	v_fma_f64 v[84:85], v[40:41], v[84:85], v[98:99]
	v_mul_f64 v[50:51], v[50:51], v[28:29]
	v_mul_f64 v[46:47], v[46:47], v[36:37]
	v_fma_f64 v[22:23], v[52:53], v[22:23], -v[12:13]
	v_add_f64 v[12:13], v[16:17], v[32:33]
	v_fma_f64 v[28:29], v[48:49], v[28:29], v[14:15]
	v_add_f64 v[14:15], v[0:1], v[16:17]
	v_fma_f64 v[36:37], v[44:45], v[36:37], v[20:21]
	v_add_f64 v[20:21], v[26:27], v[86:87]
	s_waitcnt lgkmcnt(0)
	v_mul_f64 v[58:59], v[42:43], v[90:91]
	v_fma_f64 v[30:31], v[48:49], v[30:31], -v[50:51]
	v_fma_f64 v[38:39], v[44:45], v[38:39], -v[46:47]
	v_fma_f64 v[0:1], v[12:13], -0.5, v[0:1]
	v_add_f64 v[12:13], v[18:19], -v[34:35]
	v_add_f64 v[46:47], v[14:15], v[32:33]
	v_add_f64 v[14:15], v[24:25], v[84:85]
	v_fma_f64 v[20:21], v[20:21], -0.5, v[10:11]
	v_add_f64 v[48:49], v[24:25], -v[84:85]
	s_mov_b32 s2, 0xe8584caa
	s_mov_b32 s3, 0xbfebb67a
	;; [unrolled: 1-line block ×4, first 2 shown]
	v_fma_f64 v[44:45], v[40:41], v[88:89], v[58:59]
	v_mul_f64 v[42:43], v[42:43], v[88:89]
	v_fma_f64 v[50:51], v[12:13], s[2:3], v[0:1]
	v_add_f64 v[52:53], v[18:19], v[34:35]
	v_fma_f64 v[14:15], v[14:15], -0.5, v[8:9]
	v_add_f64 v[58:59], v[26:27], -v[86:87]
	v_fma_f64 v[88:89], v[12:13], s[0:1], v[0:1]
	v_fma_f64 v[0:1], v[48:49], s[0:1], v[20:21]
	;; [unrolled: 1-line block ×3, first 2 shown]
	v_add_f64 v[18:19], v[2:3], v[18:19]
	v_add_f64 v[8:9], v[8:9], v[24:25]
	v_fma_f64 v[2:3], v[52:53], -0.5, v[2:3]
	v_add_f64 v[16:17], v[16:17], -v[32:33]
	v_fma_f64 v[20:21], v[58:59], s[2:3], v[14:15]
	v_fma_f64 v[14:15], v[58:59], s[0:1], v[14:15]
	v_mul_f64 v[24:25], v[0:1], s[2:3]
	v_mul_f64 v[32:33], v[12:13], s[2:3]
	v_add_f64 v[10:11], v[10:11], v[26:27]
	v_add_f64 v[18:19], v[18:19], v[34:35]
	v_mul_f64 v[0:1], v[0:1], 0.5
	v_add_f64 v[34:35], v[8:9], v[84:85]
	v_fma_f64 v[40:41], v[40:41], v[90:91], -v[42:43]
	v_mul_f64 v[12:13], v[12:13], -0.5
	v_fma_f64 v[26:27], v[16:17], s[0:1], v[2:3]
	v_fma_f64 v[24:25], v[20:21], 0.5, v[24:25]
	v_fma_f64 v[32:33], v[14:15], -0.5, v[32:33]
	v_add_f64 v[48:49], v[10:11], v[86:87]
	v_fma_f64 v[52:53], v[16:17], s[2:3], v[2:3]
	v_fma_f64 v[58:59], v[20:21], s[0:1], v[0:1]
	v_add_f64 v[0:1], v[46:47], v[34:35]
	v_add_f64 v[42:43], v[56:57], v[36:37]
	v_add_f64 v[16:17], v[46:47], -v[34:35]
	v_add_f64 v[34:35], v[30:31], v[40:41]
	v_fma_f64 v[84:85], v[14:15], s[0:1], v[12:13]
	v_add_f64 v[8:9], v[50:51], v[24:25]
	v_add_f64 v[12:13], v[88:89], v[32:33]
	;; [unrolled: 1-line block ×3, first 2 shown]
	v_add_f64 v[20:21], v[50:51], -v[24:25]
	v_add_f64 v[46:47], v[4:5], v[56:57]
	v_add_f64 v[24:25], v[88:89], -v[32:33]
	v_fma_f64 v[4:5], v[42:43], -0.5, v[4:5]
	v_add_f64 v[32:33], v[22:23], -v[38:39]
	v_add_f64 v[42:43], v[28:29], v[44:45]
	v_add_f64 v[18:19], v[18:19], -v[48:49]
	v_fma_f64 v[34:35], v[34:35], -0.5, v[54:55]
	v_add_f64 v[48:49], v[28:29], -v[44:45]
	v_add_f64 v[50:51], v[6:7], v[22:23]
	v_add_f64 v[22:23], v[22:23], v[38:39]
	v_add_f64 v[88:89], v[30:31], -v[40:41]
	v_fma_f64 v[86:87], v[32:33], s[2:3], v[4:5]
	v_fma_f64 v[42:43], v[42:43], -0.5, v[94:95]
	v_fma_f64 v[90:91], v[32:33], s[0:1], v[4:5]
	v_add_f64 v[28:29], v[94:95], v[28:29]
	v_fma_f64 v[4:5], v[48:49], s[0:1], v[34:35]
	v_fma_f64 v[32:33], v[48:49], s[2:3], v[34:35]
	v_add_f64 v[30:31], v[54:55], v[30:31]
	v_add_f64 v[46:47], v[46:47], v[36:37]
	v_fma_f64 v[6:7], v[22:23], -0.5, v[6:7]
	v_add_f64 v[22:23], v[56:57], -v[36:37]
	v_fma_f64 v[34:35], v[88:89], s[2:3], v[42:43]
	v_fma_f64 v[36:37], v[88:89], s[0:1], v[42:43]
	v_mul_f64 v[42:43], v[4:5], s[2:3]
	v_mul_f64 v[48:49], v[32:33], s[2:3]
	v_mul_f64 v[4:5], v[4:5], 0.5
	v_mul_f64 v[32:33], v[32:33], -0.5
	v_add_f64 v[38:39], v[50:51], v[38:39]
	v_add_f64 v[44:45], v[28:29], v[44:45]
	;; [unrolled: 1-line block ×3, first 2 shown]
	v_fma_f64 v[50:51], v[22:23], s[0:1], v[6:7]
	v_fma_f64 v[54:55], v[22:23], s[2:3], v[6:7]
	v_fma_f64 v[42:43], v[34:35], 0.5, v[42:43]
	v_fma_f64 v[48:49], v[36:37], -0.5, v[48:49]
	v_fma_f64 v[88:89], v[34:35], s[0:1], v[4:5]
	v_fma_f64 v[92:93], v[36:37], s[0:1], v[32:33]
	v_add_f64 v[10:11], v[26:27], v[58:59]
	v_add_f64 v[14:15], v[52:53], v[84:85]
	v_add_f64 v[22:23], v[26:27], -v[58:59]
	v_add_f64 v[26:27], v[52:53], -v[84:85]
	v_add_f64 v[4:5], v[46:47], v[44:45]
	v_add_f64 v[6:7], v[38:39], v[56:57]
	v_add_f64 v[28:29], v[86:87], v[42:43]
	v_add_f64 v[32:33], v[90:91], v[48:49]
	v_add_f64 v[30:31], v[50:51], v[88:89]
	v_add_f64 v[34:35], v[54:55], v[92:93]
	v_add_f64 v[36:37], v[46:47], -v[44:45]
	v_add_f64 v[40:41], v[86:87], -v[42:43]
	;; [unrolled: 1-line block ×6, first 2 shown]
	s_waitcnt lgkmcnt(0)
	; wave barrier
	ds_write_b128 v195, v[0:3]
	ds_write_b128 v195, v[8:11] offset:832
	ds_write_b128 v195, v[12:15] offset:1664
	;; [unrolled: 1-line block ×11, first 2 shown]
	s_waitcnt lgkmcnt(0)
	; wave barrier
	s_waitcnt lgkmcnt(0)
	ds_read_b128 v[0:3], v195
	ds_read_b128 v[4:7], v195 offset:832
	ds_read_b128 v[8:11], v195 offset:4992
	;; [unrolled: 1-line block ×11, first 2 shown]
	s_waitcnt lgkmcnt(9)
	v_mul_f64 v[48:49], v[62:63], v[10:11]
	v_mul_f64 v[50:51], v[62:63], v[8:9]
	s_waitcnt lgkmcnt(8)
	v_mul_f64 v[52:53], v[66:67], v[14:15]
	v_mul_f64 v[54:55], v[66:67], v[12:13]
	;; [unrolled: 3-line block ×4, first 2 shown]
	v_fma_f64 v[8:9], v[60:61], v[8:9], v[48:49]
	v_fma_f64 v[10:11], v[60:61], v[10:11], -v[50:51]
	v_fma_f64 v[12:13], v[64:65], v[12:13], v[52:53]
	v_fma_f64 v[14:15], v[64:65], v[14:15], -v[54:55]
	s_waitcnt lgkmcnt(1)
	v_mul_f64 v[48:49], v[70:71], v[42:43]
	v_mul_f64 v[50:51], v[70:71], v[40:41]
	s_waitcnt lgkmcnt(0)
	v_mul_f64 v[52:53], v[82:83], v[46:47]
	v_mul_f64 v[54:55], v[82:83], v[44:45]
	v_fma_f64 v[24:25], v[72:73], v[24:25], v[56:57]
	v_fma_f64 v[26:27], v[72:73], v[26:27], -v[58:59]
	v_fma_f64 v[28:29], v[76:77], v[28:29], v[62:63]
	v_fma_f64 v[30:31], v[76:77], v[30:31], -v[66:67]
	v_add_f64 v[8:9], v[0:1], -v[8:9]
	v_add_f64 v[10:11], v[2:3], -v[10:11]
	v_fma_f64 v[40:41], v[68:69], v[40:41], v[48:49]
	v_fma_f64 v[42:43], v[68:69], v[42:43], -v[50:51]
	v_fma_f64 v[44:45], v[80:81], v[44:45], v[52:53]
	v_fma_f64 v[46:47], v[80:81], v[46:47], -v[54:55]
	v_add_f64 v[12:13], v[4:5], -v[12:13]
	v_add_f64 v[14:15], v[6:7], -v[14:15]
	;; [unrolled: 1-line block ×6, first 2 shown]
	v_fma_f64 v[0:1], v[0:1], 2.0, -v[8:9]
	v_fma_f64 v[2:3], v[2:3], 2.0, -v[10:11]
	v_add_f64 v[40:41], v[32:33], -v[40:41]
	v_add_f64 v[42:43], v[34:35], -v[42:43]
	;; [unrolled: 1-line block ×4, first 2 shown]
	v_fma_f64 v[4:5], v[4:5], 2.0, -v[12:13]
	v_fma_f64 v[6:7], v[6:7], 2.0, -v[14:15]
	v_fma_f64 v[16:17], v[16:17], 2.0, -v[24:25]
	v_fma_f64 v[18:19], v[18:19], 2.0, -v[26:27]
	v_fma_f64 v[20:21], v[20:21], 2.0, -v[28:29]
	v_fma_f64 v[22:23], v[22:23], 2.0, -v[30:31]
	v_fma_f64 v[32:33], v[32:33], 2.0, -v[40:41]
	v_fma_f64 v[34:35], v[34:35], 2.0, -v[42:43]
	v_fma_f64 v[36:37], v[36:37], 2.0, -v[44:45]
	v_fma_f64 v[38:39], v[38:39], 2.0, -v[46:47]
	ds_write_b128 v195, v[0:3]
	ds_write_b128 v195, v[8:11] offset:4992
	ds_write_b128 v195, v[4:7] offset:832
	ds_write_b128 v195, v[12:15] offset:5824
	ds_write_b128 v195, v[16:19] offset:1664
	ds_write_b128 v195, v[24:27] offset:6656
	ds_write_b128 v195, v[20:23] offset:2496
	ds_write_b128 v195, v[28:31] offset:7488
	ds_write_b128 v195, v[32:35] offset:3328
	ds_write_b128 v195, v[40:43] offset:8320
	ds_write_b128 v195, v[36:39] offset:4160
	ds_write_b128 v195, v[44:47] offset:9152
	s_waitcnt lgkmcnt(0)
	; wave barrier
	s_waitcnt lgkmcnt(0)
	s_and_b64 exec, exec, vcc
	s_cbranch_execz .LBB0_15
; %bb.14:
	global_load_dwordx4 v[0:3], v194, s[12:13]
	global_load_dwordx4 v[4:7], v194, s[12:13] offset:768
	global_load_dwordx4 v[8:11], v194, s[12:13] offset:1536
	;; [unrolled: 1-line block ×4, first 2 shown]
	ds_read_b128 v[20:23], v195
	ds_read_b128 v[24:27], v197 offset:768
	ds_read_b128 v[28:31], v197 offset:1536
	;; [unrolled: 1-line block ×4, first 2 shown]
	global_load_dwordx4 v[40:43], v194, s[12:13] offset:3840
	v_mad_u64_u32 v[60:61], s[0:1], s6, v144, 0
	v_mad_u64_u32 v[62:63], s[2:3], s4, v193, 0
	v_mov_b32_e32 v44, s13
	s_mul_i32 s3, s5, 0x300
	s_mul_hi_u32 s6, s4, 0x300
	v_add_co_u32_e32 v80, vcc, s12, v194
	v_mov_b32_e32 v48, v61
	v_mov_b32_e32 v49, v63
	s_movk_i32 s8, 0x1000
	v_addc_co_u32_e32 v81, vcc, 0, v44, vcc
	s_add_i32 s3, s6, s3
	v_mad_u64_u32 v[66:67], s[6:7], s7, v144, v[48:49]
	v_or_b32_e32 v79, 0x180, v193
	v_add_co_u32_e32 v64, vcc, s8, v80
	v_lshlrev_b32_e32 v44, 4, v79
	global_load_dwordx4 v[44:47], v44, s[12:13]
	v_addc_co_u32_e32 v65, vcc, 0, v81, vcc
	v_mad_u64_u32 v[67:68], s[6:7], s5, v193, v[49:50]
	global_load_dwordx4 v[48:51], v[64:65], off offset:512
	global_load_dwordx4 v[52:55], v[64:65], off offset:1280
	;; [unrolled: 1-line block ×3, first 2 shown]
	v_mov_b32_e32 v61, v66
	v_lshlrev_b64 v[60:61], 4, v[60:61]
	v_mov_b32_e32 v63, v67
	v_mov_b32_e32 v69, s15
	v_lshlrev_b64 v[62:63], 4, v[62:63]
	v_add_co_u32_e32 v83, vcc, s14, v60
	v_addc_co_u32_e32 v84, vcc, v69, v61, vcc
	v_add_co_u32_e32 v60, vcc, v83, v62
	s_mul_i32 s2, s4, 0x300
	v_addc_co_u32_e32 v61, vcc, v84, v63, vcc
	v_mov_b32_e32 v70, s3
	v_add_co_u32_e32 v62, vcc, s2, v60
	v_addc_co_u32_e32 v63, vcc, v61, v70, vcc
	v_mov_b32_e32 v71, s3
	v_add_co_u32_e32 v66, vcc, s2, v62
	v_addc_co_u32_e32 v67, vcc, v63, v71, vcc
	s_mov_b32 s0, 0x1a41a41a
	s_mov_b32 s1, 0x3f5a41a4
	v_or_b32_e32 v78, 0xc0, v193
	v_mov_b32_e32 v82, s3
	s_mul_i32 s8, s5, 0x600
	s_waitcnt vmcnt(9) lgkmcnt(4)
	v_mul_f64 v[68:69], v[22:23], v[2:3]
	v_mul_f64 v[2:3], v[20:21], v[2:3]
	s_waitcnt vmcnt(8) lgkmcnt(3)
	v_mul_f64 v[70:71], v[26:27], v[6:7]
	v_mul_f64 v[6:7], v[24:25], v[6:7]
	;; [unrolled: 3-line block ×4, first 2 shown]
	v_fma_f64 v[20:21], v[20:21], v[0:1], v[68:69]
	v_fma_f64 v[2:3], v[0:1], v[22:23], -v[2:3]
	v_fma_f64 v[22:23], v[24:25], v[4:5], v[70:71]
	v_fma_f64 v[6:7], v[4:5], v[26:27], -v[6:7]
	;; [unrolled: 2-line block ×4, first 2 shown]
	v_mul_f64 v[0:1], v[20:21], s[0:1]
	v_mul_f64 v[2:3], v[2:3], s[0:1]
	;; [unrolled: 1-line block ×8, first 2 shown]
	v_add_co_u32_e32 v30, vcc, s2, v66
	v_addc_co_u32_e32 v31, vcc, v67, v82, vcc
	global_store_dwordx4 v[60:61], v[0:3], off
	global_store_dwordx4 v[62:63], v[4:7], off
	;; [unrolled: 1-line block ×4, first 2 shown]
	v_mad_u64_u32 v[20:21], s[6:7], s4, v78, 0
	global_load_dwordx4 v[0:3], v[64:65], off offset:3584
	ds_read_b128 v[4:7], v197 offset:3840
	v_mov_b32_e32 v8, v21
	v_mad_u64_u32 v[21:22], s[6:7], s5, v78, v[8:9]
	ds_read_b128 v[8:11], v197 offset:4608
	s_movk_i32 s6, 0x2000
	v_add_co_u32_e32 v12, vcc, s6, v80
	s_waitcnt vmcnt(9) lgkmcnt(1)
	v_mul_f64 v[22:23], v[6:7], v[42:43]
	v_mul_f64 v[24:25], v[4:5], v[42:43]
	v_addc_co_u32_e32 v13, vcc, 0, v81, vcc
	global_load_dwordx4 v[12:15], v[12:13], off offset:256
	v_mul_f64 v[76:77], v[38:39], v[18:19]
	v_mul_f64 v[18:19], v[36:37], v[18:19]
	v_lshlrev_b64 v[20:21], 4, v[20:21]
	v_fma_f64 v[22:23], v[4:5], v[40:41], v[22:23]
	v_fma_f64 v[24:25], v[40:41], v[6:7], -v[24:25]
	v_or_b32_e32 v40, 0x240, v193
	v_lshlrev_b32_e32 v4, 4, v40
	global_load_dwordx4 v[4:7], v4, s[12:13]
	v_fma_f64 v[28:29], v[36:37], v[16:17], v[76:77]
	v_fma_f64 v[18:19], v[16:17], v[38:39], -v[18:19]
	s_waitcnt vmcnt(9) lgkmcnt(0)
	v_mul_f64 v[32:33], v[10:11], v[50:51]
	v_mul_f64 v[34:35], v[8:9], v[50:51]
	v_mov_b32_e32 v41, 0x600
	v_mad_u64_u32 v[30:31], s[6:7], s4, v41, v[30:31]
	v_mul_f64 v[16:17], v[28:29], s[0:1]
	v_add_co_u32_e32 v28, vcc, v83, v20
	v_addc_co_u32_e32 v29, vcc, v84, v21, vcc
	v_mul_f64 v[20:21], v[22:23], s[0:1]
	v_mul_f64 v[22:23], v[24:25], s[0:1]
	ds_read_b128 v[24:27], v197 offset:5376
	v_mul_f64 v[18:19], v[18:19], s[0:1]
	v_fma_f64 v[32:33], v[8:9], v[48:49], v[32:33]
	v_fma_f64 v[34:35], v[48:49], v[10:11], -v[34:35]
	ds_read_b128 v[8:11], v197 offset:6144
	s_waitcnt vmcnt(8) lgkmcnt(1)
	v_mul_f64 v[38:39], v[24:25], v[54:55]
	v_mul_f64 v[36:37], v[26:27], v[54:55]
	v_add_u32_e32 v31, s8, v31
	global_store_dwordx4 v[28:29], v[16:19], off
	global_store_dwordx4 v[30:31], v[20:23], off
	v_mul_f64 v[16:17], v[32:33], s[0:1]
	v_mul_f64 v[18:19], v[34:35], s[0:1]
	v_fma_f64 v[22:23], v[52:53], v[26:27], -v[38:39]
	s_waitcnt lgkmcnt(0)
	v_mul_f64 v[26:27], v[10:11], v[46:47]
	v_fma_f64 v[20:21], v[24:25], v[52:53], v[36:37]
	v_mul_f64 v[28:29], v[8:9], v[46:47]
	v_mov_b32_e32 v25, s3
	v_add_co_u32_e32 v24, vcc, s2, v30
	v_addc_co_u32_e32 v25, vcc, v31, v25, vcc
	v_fma_f64 v[26:27], v[8:9], v[44:45], v[26:27]
	global_store_dwordx4 v[24:25], v[16:19], off
	v_add_co_u32_e32 v30, vcc, s2, v24
	v_mul_f64 v[16:17], v[20:21], s[0:1]
	v_mov_b32_e32 v20, s3
	v_mul_f64 v[18:19], v[22:23], s[0:1]
	v_addc_co_u32_e32 v31, vcc, v25, v20, vcc
	ds_read_b128 v[20:23], v197 offset:6912
	v_mad_u64_u32 v[24:25], s[6:7], s4, v79, 0
	v_fma_f64 v[28:29], v[44:45], v[10:11], -v[28:29]
	ds_read_b128 v[8:11], v197 offset:7680
	s_waitcnt vmcnt(10) lgkmcnt(1)
	v_mul_f64 v[32:33], v[22:23], v[58:59]
	v_mad_u64_u32 v[36:37], s[6:7], s5, v79, v[25:26]
	global_store_dwordx4 v[30:31], v[16:19], off
	v_mul_f64 v[34:35], v[20:21], v[58:59]
	v_mov_b32_e32 v25, v36
	v_mul_f64 v[18:19], v[28:29], s[0:1]
	v_lshlrev_b64 v[24:25], 4, v[24:25]
	s_waitcnt vmcnt(6) lgkmcnt(0)
	v_mul_f64 v[28:29], v[10:11], v[2:3]
	v_mul_f64 v[2:3], v[8:9], v[2:3]
	v_fma_f64 v[20:21], v[20:21], v[56:57], v[32:33]
	v_add_co_u32_e32 v32, vcc, v83, v24
	v_mul_f64 v[16:17], v[26:27], s[0:1]
	v_addc_co_u32_e32 v33, vcc, v84, v25, vcc
	ds_read_b128 v[24:27], v197 offset:8448
	v_fma_f64 v[8:9], v[8:9], v[0:1], v[28:29]
	v_fma_f64 v[10:11], v[0:1], v[10:11], -v[2:3]
	ds_read_b128 v[0:3], v197 offset:9216
	v_fma_f64 v[22:23], v[56:57], v[22:23], -v[34:35]
	s_waitcnt vmcnt(5) lgkmcnt(1)
	v_mul_f64 v[28:29], v[26:27], v[14:15]
	v_mul_f64 v[14:15], v[24:25], v[14:15]
	global_store_dwordx4 v[32:33], v[16:19], off
	v_mul_f64 v[20:21], v[20:21], s[0:1]
	v_mul_f64 v[8:9], v[8:9], s[0:1]
	;; [unrolled: 1-line block ×3, first 2 shown]
	v_mad_u64_u32 v[30:31], s[6:7], s4, v41, v[30:31]
	v_fma_f64 v[16:17], v[24:25], v[12:13], v[28:29]
	v_fma_f64 v[12:13], v[12:13], v[26:27], -v[14:15]
	s_waitcnt vmcnt(5) lgkmcnt(0)
	v_mul_f64 v[14:15], v[2:3], v[6:7]
	v_mul_f64 v[18:19], v[0:1], v[6:7]
	;; [unrolled: 1-line block ×3, first 2 shown]
	v_add_u32_e32 v31, s8, v31
	v_mul_f64 v[6:7], v[16:17], s[0:1]
	v_fma_f64 v[0:1], v[0:1], v[4:5], v[14:15]
	v_fma_f64 v[2:3], v[4:5], v[2:3], -v[18:19]
	v_mad_u64_u32 v[4:5], s[6:7], s4, v40, 0
	global_store_dwordx4 v[30:31], v[20:23], off
	v_mul_f64 v[0:1], v[0:1], s[0:1]
	v_mov_b32_e32 v21, s3
	v_add_co_u32_e32 v20, vcc, s2, v30
	v_addc_co_u32_e32 v21, vcc, v31, v21, vcc
	global_store_dwordx4 v[20:21], v[8:11], off
	v_mul_f64 v[2:3], v[2:3], s[0:1]
	v_mul_f64 v[8:9], v[12:13], s[0:1]
	v_mov_b32_e32 v11, s3
	v_add_co_u32_e32 v10, vcc, s2, v20
	v_mad_u64_u32 v[12:13], s[2:3], s5, v40, v[5:6]
	v_addc_co_u32_e32 v11, vcc, v21, v11, vcc
	v_mov_b32_e32 v5, v12
	v_lshlrev_b64 v[4:5], 4, v[4:5]
	global_store_dwordx4 v[10:11], v[6:9], off
	v_add_co_u32_e32 v4, vcc, v83, v4
	v_addc_co_u32_e32 v5, vcc, v84, v5, vcc
	global_store_dwordx4 v[4:5], v[0:3], off
.LBB0_15:
	s_endpgm
	.section	.rodata,"a",@progbits
	.p2align	6, 0x0
	.amdhsa_kernel bluestein_single_back_len624_dim1_dp_op_CI_CI
		.amdhsa_group_segment_fixed_size 9984
		.amdhsa_private_segment_fixed_size 20
		.amdhsa_kernarg_size 104
		.amdhsa_user_sgpr_count 6
		.amdhsa_user_sgpr_private_segment_buffer 1
		.amdhsa_user_sgpr_dispatch_ptr 0
		.amdhsa_user_sgpr_queue_ptr 0
		.amdhsa_user_sgpr_kernarg_segment_ptr 1
		.amdhsa_user_sgpr_dispatch_id 0
		.amdhsa_user_sgpr_flat_scratch_init 0
		.amdhsa_user_sgpr_private_segment_size 0
		.amdhsa_uses_dynamic_stack 0
		.amdhsa_system_sgpr_private_segment_wavefront_offset 1
		.amdhsa_system_sgpr_workgroup_id_x 1
		.amdhsa_system_sgpr_workgroup_id_y 0
		.amdhsa_system_sgpr_workgroup_id_z 0
		.amdhsa_system_sgpr_workgroup_info 0
		.amdhsa_system_vgpr_workitem_id 0
		.amdhsa_next_free_vgpr 256
		.amdhsa_next_free_sgpr 52
		.amdhsa_reserve_vcc 1
		.amdhsa_reserve_flat_scratch 0
		.amdhsa_float_round_mode_32 0
		.amdhsa_float_round_mode_16_64 0
		.amdhsa_float_denorm_mode_32 3
		.amdhsa_float_denorm_mode_16_64 3
		.amdhsa_dx10_clamp 1
		.amdhsa_ieee_mode 1
		.amdhsa_fp16_overflow 0
		.amdhsa_exception_fp_ieee_invalid_op 0
		.amdhsa_exception_fp_denorm_src 0
		.amdhsa_exception_fp_ieee_div_zero 0
		.amdhsa_exception_fp_ieee_overflow 0
		.amdhsa_exception_fp_ieee_underflow 0
		.amdhsa_exception_fp_ieee_inexact 0
		.amdhsa_exception_int_div_zero 0
	.end_amdhsa_kernel
	.text
.Lfunc_end0:
	.size	bluestein_single_back_len624_dim1_dp_op_CI_CI, .Lfunc_end0-bluestein_single_back_len624_dim1_dp_op_CI_CI
                                        ; -- End function
	.section	.AMDGPU.csdata,"",@progbits
; Kernel info:
; codeLenInByte = 17616
; NumSgprs: 56
; NumVgprs: 256
; ScratchSize: 20
; MemoryBound: 0
; FloatMode: 240
; IeeeMode: 1
; LDSByteSize: 9984 bytes/workgroup (compile time only)
; SGPRBlocks: 6
; VGPRBlocks: 63
; NumSGPRsForWavesPerEU: 56
; NumVGPRsForWavesPerEU: 256
; Occupancy: 1
; WaveLimiterHint : 1
; COMPUTE_PGM_RSRC2:SCRATCH_EN: 1
; COMPUTE_PGM_RSRC2:USER_SGPR: 6
; COMPUTE_PGM_RSRC2:TRAP_HANDLER: 0
; COMPUTE_PGM_RSRC2:TGID_X_EN: 1
; COMPUTE_PGM_RSRC2:TGID_Y_EN: 0
; COMPUTE_PGM_RSRC2:TGID_Z_EN: 0
; COMPUTE_PGM_RSRC2:TIDIG_COMP_CNT: 0
	.type	__hip_cuid_2637902d0114fa40,@object ; @__hip_cuid_2637902d0114fa40
	.section	.bss,"aw",@nobits
	.globl	__hip_cuid_2637902d0114fa40
__hip_cuid_2637902d0114fa40:
	.byte	0                               ; 0x0
	.size	__hip_cuid_2637902d0114fa40, 1

	.ident	"AMD clang version 19.0.0git (https://github.com/RadeonOpenCompute/llvm-project roc-6.4.0 25133 c7fe45cf4b819c5991fe208aaa96edf142730f1d)"
	.section	".note.GNU-stack","",@progbits
	.addrsig
	.addrsig_sym __hip_cuid_2637902d0114fa40
	.amdgpu_metadata
---
amdhsa.kernels:
  - .args:
      - .actual_access:  read_only
        .address_space:  global
        .offset:         0
        .size:           8
        .value_kind:     global_buffer
      - .actual_access:  read_only
        .address_space:  global
        .offset:         8
        .size:           8
        .value_kind:     global_buffer
      - .actual_access:  read_only
        .address_space:  global
        .offset:         16
        .size:           8
        .value_kind:     global_buffer
      - .actual_access:  read_only
        .address_space:  global
        .offset:         24
        .size:           8
        .value_kind:     global_buffer
      - .actual_access:  read_only
        .address_space:  global
        .offset:         32
        .size:           8
        .value_kind:     global_buffer
      - .offset:         40
        .size:           8
        .value_kind:     by_value
      - .address_space:  global
        .offset:         48
        .size:           8
        .value_kind:     global_buffer
      - .address_space:  global
        .offset:         56
        .size:           8
        .value_kind:     global_buffer
      - .address_space:  global
        .offset:         64
        .size:           8
        .value_kind:     global_buffer
      - .address_space:  global
        .offset:         72
        .size:           8
        .value_kind:     global_buffer
      - .offset:         80
        .size:           4
        .value_kind:     by_value
      - .address_space:  global
        .offset:         88
        .size:           8
        .value_kind:     global_buffer
      - .address_space:  global
        .offset:         96
        .size:           8
        .value_kind:     global_buffer
    .group_segment_fixed_size: 9984
    .kernarg_segment_align: 8
    .kernarg_segment_size: 104
    .language:       OpenCL C
    .language_version:
      - 2
      - 0
    .max_flat_workgroup_size: 52
    .name:           bluestein_single_back_len624_dim1_dp_op_CI_CI
    .private_segment_fixed_size: 20
    .sgpr_count:     56
    .sgpr_spill_count: 0
    .symbol:         bluestein_single_back_len624_dim1_dp_op_CI_CI.kd
    .uniform_work_group_size: 1
    .uses_dynamic_stack: false
    .vgpr_count:     256
    .vgpr_spill_count: 4
    .wavefront_size: 64
amdhsa.target:   amdgcn-amd-amdhsa--gfx906
amdhsa.version:
  - 1
  - 2
...

	.end_amdgpu_metadata
